;; amdgpu-corpus repo=tuanlda78202/gpt-oss-amd kind=compiled arch=gfx90a opt=O3
	.text
	.amdgcn_target "amdgcn-amd-amdhsa--gfx90a"
	.amdhsa_code_object_version 6
	.section	.text._Z22fa2_decode_mfma_head64I14__hip_bfloat16Lb1ELi16ELi16EEvPKfPKvS4_S2_PKS0_PfiiiiiiiiPKiS9_xPKxS9_S9_i,"axG",@progbits,_Z22fa2_decode_mfma_head64I14__hip_bfloat16Lb1ELi16ELi16EEvPKfPKvS4_S2_PKS0_PfiiiiiiiiPKiS9_xPKxS9_S9_i,comdat
	.protected	_Z22fa2_decode_mfma_head64I14__hip_bfloat16Lb1ELi16ELi16EEvPKfPKvS4_S2_PKS0_PfiiiiiiiiPKiS9_xPKxS9_S9_i ; -- Begin function _Z22fa2_decode_mfma_head64I14__hip_bfloat16Lb1ELi16ELi16EEvPKfPKvS4_S2_PKS0_PfiiiiiiiiPKiS9_xPKxS9_S9_i
	.globl	_Z22fa2_decode_mfma_head64I14__hip_bfloat16Lb1ELi16ELi16EEvPKfPKvS4_S2_PKS0_PfiiiiiiiiPKiS9_xPKxS9_S9_i
	.p2align	8
	.type	_Z22fa2_decode_mfma_head64I14__hip_bfloat16Lb1ELi16ELi16EEvPKfPKvS4_S2_PKS0_PfiiiiiiiiPKiS9_xPKxS9_S9_i,@function
_Z22fa2_decode_mfma_head64I14__hip_bfloat16Lb1ELi16ELi16EEvPKfPKvS4_S2_PKS0_PfiiiiiiiiPKiS9_xPKxS9_S9_i: ; @_Z22fa2_decode_mfma_head64I14__hip_bfloat16Lb1ELi16ELi16EEvPKfPKvS4_S2_PKS0_PfiiiiiiiiPKiS9_xPKxS9_S9_i
; %bb.0:
	s_load_dwordx2 s[8:9], s[4:5], 0x30
	s_load_dwordx2 s[52:53], s[4:5], 0x3c
	v_cmp_gt_u32_e32 vcc, 64, v0
	s_waitcnt lgkmcnt(0)
	s_cmp_lt_i32 s7, s8
	s_cselect_b64 s[0:1], -1, 0
	s_and_b64 s[0:1], vcc, s[0:1]
	s_cmp_gt_i32 s53, 0
	s_cselect_b64 s[10:11], -1, 0
	s_and_b64 s[0:1], s[0:1], s[10:11]
	s_and_saveexec_b64 s[10:11], s[0:1]
	s_cbranch_execz .LBB0_307
; %bb.1:
	s_load_dwordx2 s[14:15], s[4:5], 0x48
	s_mul_i32 s33, s6, s53
	s_waitcnt lgkmcnt(0)
	s_cmp_ge_i32 s33, s15
	s_cbranch_scc1 .LBB0_307
; %bb.2:
	s_mov_b32 s2, s7
	s_load_dwordx4 s[24:27], s[4:5], 0x50
	s_load_dwordx2 s[0:1], s[4:5], 0x78
	s_load_dwordx4 s[20:23], s[4:5], 0x68
	s_load_dwordx2 s[16:17], s[4:5], 0x0
	s_ashr_i32 s3, s7, 31
	s_lshl_b64 s[10:11], s[2:3], 2
	s_waitcnt lgkmcnt(0)
	s_add_u32 s12, s24, s10
	s_addc_u32 s13, s25, s11
	s_ashr_i32 s25, s14, 31
	s_mov_b32 s24, s14
	s_lshl_b64 s[28:29], s[24:25], 2
	s_add_u32 s18, s0, s28
	s_addc_u32 s19, s1, s29
	s_lshl_b64 s[0:1], s[24:25], 3
	s_add_u32 s20, s20, s0
	s_addc_u32 s21, s21, s1
	s_add_u32 s22, s22, s28
	s_addc_u32 s23, s23, s29
	;; [unrolled: 2-line block ×3, first 2 shown]
	v_cmp_gt_u32_e64 s[0:1], 16, v0
	s_and_saveexec_b64 s[10:11], s[0:1]
	s_cbranch_execz .LBB0_4
; %bb.3:
	v_lshlrev_b32_e32 v1, 2, v0
	v_mov_b32_e32 v2, 0xff800000
	v_mov_b32_e32 v3, 0
	v_add_u32_e32 v1, 0x1000, v1
	ds_write2_b32 v1, v3, v2 offset0:144 offset1:160
.LBB0_4:
	s_or_b64 exec, exec, s[10:11]
	s_load_dwordx8 s[40:47], s[4:5], 0x8
	s_load_dwordx2 s[54:55], s[4:5], 0x28
	s_load_dwordx2 s[10:11], s[20:21], 0x0
	s_load_dword s68, s[12:13], 0x0
	s_load_dword s8, s[18:19], 0x0
	;; [unrolled: 1-line block ×4, first 2 shown]
	s_mul_hi_i32 s13, s2, s15
	s_mul_i32 s12, s2, s15
	v_and_b32_e32 v38, 15, v0
	s_lshl_b64 s[2:3], s[12:13], 8
	v_add_u32_e32 v2, s33, v38
	s_add_u32 s14, s16, s2
	v_rsq_f32_e32 v1, 0x42800000
	v_ashrrev_i32_e32 v3, 31, v2
	s_addc_u32 s15, s17, s3
	v_lshlrev_b64 v[2:3], 8, v[2:3]
	v_lshrrev_b32_e32 v40, 2, v0
	v_mov_b32_e32 v5, s15
	v_add_co_u32_e32 v4, vcc, s14, v2
	v_and_b32_e32 v39, 12, v40
	v_mov_b32_e32 v23, 0
	v_cmp_gt_u32_e64 s[2:3], s53, v38
	v_addc_co_u32_e32 v5, vcc, v5, v3, vcc
	v_lshlrev_b32_e32 v41, 2, v39
	v_mov_b32_e32 v22, v23
	s_waitcnt lgkmcnt(0)
	s_barrier
	s_and_saveexec_b64 s[14:15], s[2:3]
	s_cbranch_execz .LBB0_22
; %bb.5:
	v_add_co_u32_e32 v2, vcc, v4, v41
	v_addc_co_u32_e32 v3, vcc, 0, v5, vcc
	global_load_dword v6, v[2:3], off
	s_mov_b32 s16, 0x7f800000
	s_waitcnt vmcnt(0)
	v_mul_f32_e32 v7, v1, v6
	v_and_b32_e32 v6, 0x7f800000, v7
	v_cmp_ne_u32_e32 vcc, s16, v6
                                        ; implicit-def: $vgpr6
	s_and_saveexec_b64 s[16:17], vcc
	s_xor_b64 s[16:17], exec, s[16:17]
; %bb.6:
	v_bfe_u32 v6, v7, 16, 1
	s_movk_i32 s18, 0x7fff
	v_add3_u32 v6, v7, v6, s18
                                        ; implicit-def: $vgpr7
; %bb.7:
	s_andn2_saveexec_b64 s[16:17], s[16:17]
; %bb.8:
	v_mov_b32_e32 v6, 0
	v_or_b32_e32 v8, 0x10000, v7
	v_cmp_eq_u32_sdwa vcc, v7, v6 src0_sel:WORD_0 src1_sel:DWORD
	v_cndmask_b32_e32 v6, v8, v7, vcc
; %bb.9:
	s_or_b64 exec, exec, s[16:17]
	global_load_dword v7, v[2:3], off offset:4
	s_mov_b32 s16, 0x7f800000
	s_waitcnt vmcnt(0)
	v_mul_f32_e32 v8, v1, v7
	v_and_b32_e32 v7, 0x7f800000, v8
	v_cmp_ne_u32_e32 vcc, s16, v7
                                        ; implicit-def: $vgpr7
	s_and_saveexec_b64 s[16:17], vcc
	s_xor_b64 s[16:17], exec, s[16:17]
; %bb.10:
	v_bfe_u32 v7, v8, 16, 1
	s_movk_i32 s18, 0x7fff
	v_add3_u32 v7, v8, v7, s18
                                        ; implicit-def: $vgpr8
; %bb.11:
	s_andn2_saveexec_b64 s[16:17], s[16:17]
; %bb.12:
	v_mov_b32_e32 v7, 0
	v_or_b32_e32 v9, 0x10000, v8
	v_cmp_eq_u32_sdwa vcc, v8, v7 src0_sel:WORD_0 src1_sel:DWORD
	v_cndmask_b32_e32 v7, v9, v8, vcc
; %bb.13:
	s_or_b64 exec, exec, s[16:17]
	global_load_dword v2, v[2:3], off offset:8
	s_mov_b32 s16, 0x7f800000
	s_waitcnt vmcnt(0)
	v_mul_f32_e32 v3, v1, v2
	v_and_b32_e32 v2, 0x7f800000, v3
	v_cmp_ne_u32_e32 vcc, s16, v2
                                        ; implicit-def: $vgpr2
	s_and_saveexec_b64 s[16:17], vcc
	s_xor_b64 s[16:17], exec, s[16:17]
; %bb.14:
	v_bfe_u32 v2, v3, 16, 1
	s_movk_i32 s18, 0x7fff
	v_add3_u32 v2, v3, v2, s18
                                        ; implicit-def: $vgpr3
; %bb.15:
	s_andn2_saveexec_b64 s[16:17], s[16:17]
; %bb.16:
	v_mov_b32_e32 v2, 0
	v_or_b32_e32 v8, 0x10000, v3
	v_cmp_eq_u32_sdwa vcc, v3, v2 src0_sel:WORD_0 src1_sel:DWORD
	v_cndmask_b32_e32 v2, v8, v3, vcc
; %bb.17:
	s_or_b64 exec, exec, s[16:17]
	v_lshl_or_b32 v3, v40, 2, 12
	v_add_co_u32_e32 v8, vcc, v4, v3
	v_addc_co_u32_e32 v9, vcc, 0, v5, vcc
	global_load_dword v3, v[8:9], off
	s_mov_b32 s16, 0x7f800000
	s_waitcnt vmcnt(0)
	v_mul_f32_e32 v3, v1, v3
	v_and_b32_e32 v8, 0x7f800000, v3
	v_cmp_ne_u32_e32 vcc, s16, v8
                                        ; implicit-def: $vgpr8
	s_and_saveexec_b64 s[16:17], vcc
	s_xor_b64 s[16:17], exec, s[16:17]
; %bb.18:
	v_bfe_u32 v8, v3, 16, 1
	s_movk_i32 s18, 0x7fff
	v_add3_u32 v8, v3, v8, s18
                                        ; implicit-def: $vgpr3
; %bb.19:
	s_andn2_saveexec_b64 s[16:17], s[16:17]
; %bb.20:
	v_mov_b32_e32 v8, 0
	v_or_b32_e32 v9, 0x10000, v3
	v_cmp_eq_u32_sdwa vcc, v3, v8 src0_sel:WORD_0 src1_sel:DWORD
	v_cndmask_b32_e32 v8, v9, v3, vcc
; %bb.21:
	s_or_b64 exec, exec, s[16:17]
	s_mov_b32 s16, 0x7060302
	v_perm_b32 v22, v7, v6, s16
	v_perm_b32 v23, v8, v2, s16
.LBB0_22:
	s_or_b64 exec, exec, s[14:15]
	v_mov_b32_e32 v25, 0
	s_lshl_b64 s[56:57], s[12:13], 6
	v_mov_b32_e32 v24, v25
	s_and_saveexec_b64 s[12:13], s[2:3]
	s_cbranch_execz .LBB0_40
; %bb.23:
	v_add_co_u32_e32 v2, vcc, v4, v41
	v_addc_co_u32_e32 v3, vcc, 0, v5, vcc
	global_load_dword v6, v[2:3], off offset:64
	s_mov_b32 s14, 0x7f800000
	s_waitcnt vmcnt(0)
	v_mul_f32_e32 v7, v1, v6
	v_and_b32_e32 v6, 0x7f800000, v7
	v_cmp_ne_u32_e32 vcc, s14, v6
                                        ; implicit-def: $vgpr6
	s_and_saveexec_b64 s[14:15], vcc
	s_xor_b64 s[14:15], exec, s[14:15]
; %bb.24:
	v_bfe_u32 v6, v7, 16, 1
	s_movk_i32 s16, 0x7fff
	v_add3_u32 v6, v7, v6, s16
                                        ; implicit-def: $vgpr7
; %bb.25:
	s_andn2_saveexec_b64 s[14:15], s[14:15]
; %bb.26:
	v_mov_b32_e32 v6, 0
	v_or_b32_e32 v8, 0x10000, v7
	v_cmp_eq_u32_sdwa vcc, v7, v6 src0_sel:WORD_0 src1_sel:DWORD
	v_cndmask_b32_e32 v6, v8, v7, vcc
; %bb.27:
	s_or_b64 exec, exec, s[14:15]
	global_load_dword v7, v[2:3], off offset:68
	s_mov_b32 s14, 0x7f800000
	s_waitcnt vmcnt(0)
	v_mul_f32_e32 v8, v1, v7
	v_and_b32_e32 v7, 0x7f800000, v8
	v_cmp_ne_u32_e32 vcc, s14, v7
                                        ; implicit-def: $vgpr7
	s_and_saveexec_b64 s[14:15], vcc
	s_xor_b64 s[14:15], exec, s[14:15]
; %bb.28:
	v_bfe_u32 v7, v8, 16, 1
	s_movk_i32 s16, 0x7fff
	v_add3_u32 v7, v8, v7, s16
                                        ; implicit-def: $vgpr8
; %bb.29:
	s_andn2_saveexec_b64 s[14:15], s[14:15]
; %bb.30:
	v_mov_b32_e32 v7, 0
	v_or_b32_e32 v9, 0x10000, v8
	v_cmp_eq_u32_sdwa vcc, v8, v7 src0_sel:WORD_0 src1_sel:DWORD
	v_cndmask_b32_e32 v7, v9, v8, vcc
; %bb.31:
	s_or_b64 exec, exec, s[14:15]
	global_load_dword v2, v[2:3], off offset:72
	s_mov_b32 s14, 0x7f800000
	s_waitcnt vmcnt(0)
	v_mul_f32_e32 v3, v1, v2
	v_and_b32_e32 v2, 0x7f800000, v3
	v_cmp_ne_u32_e32 vcc, s14, v2
                                        ; implicit-def: $vgpr2
	s_and_saveexec_b64 s[14:15], vcc
	s_xor_b64 s[14:15], exec, s[14:15]
; %bb.32:
	v_bfe_u32 v2, v3, 16, 1
	s_movk_i32 s16, 0x7fff
	v_add3_u32 v2, v3, v2, s16
                                        ; implicit-def: $vgpr3
; %bb.33:
	s_andn2_saveexec_b64 s[14:15], s[14:15]
; %bb.34:
	v_mov_b32_e32 v2, 0
	v_or_b32_e32 v8, 0x10000, v3
	v_cmp_eq_u32_sdwa vcc, v3, v2 src0_sel:WORD_0 src1_sel:DWORD
	v_cndmask_b32_e32 v2, v8, v3, vcc
; %bb.35:
	s_or_b64 exec, exec, s[14:15]
	v_mov_b32_e32 v3, 0x4c
	v_lshl_or_b32 v3, v40, 2, v3
	v_add_co_u32_e32 v8, vcc, v4, v3
	v_addc_co_u32_e32 v9, vcc, 0, v5, vcc
	global_load_dword v3, v[8:9], off
	s_mov_b32 s14, 0x7f800000
	s_waitcnt vmcnt(0)
	v_mul_f32_e32 v3, v1, v3
	v_and_b32_e32 v8, 0x7f800000, v3
	v_cmp_ne_u32_e32 vcc, s14, v8
                                        ; implicit-def: $vgpr8
	s_and_saveexec_b64 s[14:15], vcc
	s_xor_b64 s[14:15], exec, s[14:15]
; %bb.36:
	v_bfe_u32 v8, v3, 16, 1
	s_movk_i32 s16, 0x7fff
	v_add3_u32 v8, v3, v8, s16
                                        ; implicit-def: $vgpr3
; %bb.37:
	s_andn2_saveexec_b64 s[14:15], s[14:15]
; %bb.38:
	v_mov_b32_e32 v8, 0
	v_or_b32_e32 v9, 0x10000, v3
	v_cmp_eq_u32_sdwa vcc, v3, v8 src0_sel:WORD_0 src1_sel:DWORD
	v_cndmask_b32_e32 v8, v9, v3, vcc
; %bb.39:
	s_or_b64 exec, exec, s[14:15]
	s_mov_b32 s14, 0x7060302
	v_perm_b32 v24, v7, v6, s14
	v_perm_b32 v25, v8, v2, s14
.LBB0_40:
	s_or_b64 exec, exec, s[12:13]
	v_mov_b32_e32 v27, 0
	v_mov_b32_e32 v26, v27
	s_and_saveexec_b64 s[12:13], s[2:3]
	s_cbranch_execz .LBB0_58
; %bb.41:
	v_add_co_u32_e32 v2, vcc, v4, v41
	v_addc_co_u32_e32 v3, vcc, 0, v5, vcc
	global_load_dword v6, v[2:3], off offset:128
	s_mov_b32 s14, 0x7f800000
	s_waitcnt vmcnt(0)
	v_mul_f32_e32 v7, v1, v6
	v_and_b32_e32 v6, 0x7f800000, v7
	v_cmp_ne_u32_e32 vcc, s14, v6
                                        ; implicit-def: $vgpr6
	s_and_saveexec_b64 s[14:15], vcc
	s_xor_b64 s[14:15], exec, s[14:15]
; %bb.42:
	v_bfe_u32 v6, v7, 16, 1
	s_movk_i32 s16, 0x7fff
	v_add3_u32 v6, v7, v6, s16
                                        ; implicit-def: $vgpr7
; %bb.43:
	s_andn2_saveexec_b64 s[14:15], s[14:15]
; %bb.44:
	v_mov_b32_e32 v6, 0
	v_or_b32_e32 v8, 0x10000, v7
	v_cmp_eq_u32_sdwa vcc, v7, v6 src0_sel:WORD_0 src1_sel:DWORD
	v_cndmask_b32_e32 v6, v8, v7, vcc
; %bb.45:
	s_or_b64 exec, exec, s[14:15]
	global_load_dword v7, v[2:3], off offset:132
	s_mov_b32 s14, 0x7f800000
	s_waitcnt vmcnt(0)
	v_mul_f32_e32 v8, v1, v7
	v_and_b32_e32 v7, 0x7f800000, v8
	v_cmp_ne_u32_e32 vcc, s14, v7
                                        ; implicit-def: $vgpr7
	s_and_saveexec_b64 s[14:15], vcc
	s_xor_b64 s[14:15], exec, s[14:15]
; %bb.46:
	v_bfe_u32 v7, v8, 16, 1
	s_movk_i32 s16, 0x7fff
	v_add3_u32 v7, v8, v7, s16
                                        ; implicit-def: $vgpr8
; %bb.47:
	s_andn2_saveexec_b64 s[14:15], s[14:15]
; %bb.48:
	v_mov_b32_e32 v7, 0
	v_or_b32_e32 v9, 0x10000, v8
	v_cmp_eq_u32_sdwa vcc, v8, v7 src0_sel:WORD_0 src1_sel:DWORD
	v_cndmask_b32_e32 v7, v9, v8, vcc
; %bb.49:
	s_or_b64 exec, exec, s[14:15]
	global_load_dword v2, v[2:3], off offset:136
	s_mov_b32 s14, 0x7f800000
	s_waitcnt vmcnt(0)
	v_mul_f32_e32 v3, v1, v2
	v_and_b32_e32 v2, 0x7f800000, v3
	v_cmp_ne_u32_e32 vcc, s14, v2
                                        ; implicit-def: $vgpr2
	s_and_saveexec_b64 s[14:15], vcc
	s_xor_b64 s[14:15], exec, s[14:15]
; %bb.50:
	v_bfe_u32 v2, v3, 16, 1
	s_movk_i32 s16, 0x7fff
	v_add3_u32 v2, v3, v2, s16
                                        ; implicit-def: $vgpr3
; %bb.51:
	s_andn2_saveexec_b64 s[14:15], s[14:15]
; %bb.52:
	v_mov_b32_e32 v2, 0
	v_or_b32_e32 v8, 0x10000, v3
	v_cmp_eq_u32_sdwa vcc, v3, v2 src0_sel:WORD_0 src1_sel:DWORD
	v_cndmask_b32_e32 v2, v8, v3, vcc
; %bb.53:
	s_or_b64 exec, exec, s[14:15]
	v_mov_b32_e32 v3, 0x8c
	v_lshl_or_b32 v3, v40, 2, v3
	v_add_co_u32_e32 v8, vcc, v4, v3
	v_addc_co_u32_e32 v9, vcc, 0, v5, vcc
	global_load_dword v3, v[8:9], off
	s_mov_b32 s14, 0x7f800000
	s_waitcnt vmcnt(0)
	v_mul_f32_e32 v3, v1, v3
	v_and_b32_e32 v8, 0x7f800000, v3
	v_cmp_ne_u32_e32 vcc, s14, v8
                                        ; implicit-def: $vgpr8
	s_and_saveexec_b64 s[14:15], vcc
	s_xor_b64 s[14:15], exec, s[14:15]
; %bb.54:
	v_bfe_u32 v8, v3, 16, 1
	s_movk_i32 s16, 0x7fff
	v_add3_u32 v8, v3, v8, s16
                                        ; implicit-def: $vgpr3
; %bb.55:
	s_andn2_saveexec_b64 s[14:15], s[14:15]
; %bb.56:
	v_mov_b32_e32 v8, 0
	v_or_b32_e32 v9, 0x10000, v3
	v_cmp_eq_u32_sdwa vcc, v3, v8 src0_sel:WORD_0 src1_sel:DWORD
	v_cndmask_b32_e32 v8, v9, v3, vcc
; %bb.57:
	s_or_b64 exec, exec, s[14:15]
	s_mov_b32 s14, 0x7060302
	v_perm_b32 v26, v7, v6, s14
	v_perm_b32 v27, v8, v2, s14
.LBB0_58:
	s_or_b64 exec, exec, s[12:13]
	v_mov_b32_e32 v29, 0
	v_mov_b32_e32 v28, v29
	s_and_saveexec_b64 s[12:13], s[2:3]
	s_cbranch_execz .LBB0_76
; %bb.59:
	v_add_co_u32_e32 v2, vcc, v4, v41
	v_addc_co_u32_e32 v3, vcc, 0, v5, vcc
	global_load_dword v6, v[2:3], off offset:192
	s_mov_b32 s14, 0x7f800000
	s_waitcnt vmcnt(0)
	v_mul_f32_e32 v7, v1, v6
	v_and_b32_e32 v6, 0x7f800000, v7
	v_cmp_ne_u32_e32 vcc, s14, v6
                                        ; implicit-def: $vgpr6
	s_and_saveexec_b64 s[14:15], vcc
	s_xor_b64 s[14:15], exec, s[14:15]
; %bb.60:
	v_bfe_u32 v6, v7, 16, 1
	s_movk_i32 s16, 0x7fff
	v_add3_u32 v6, v7, v6, s16
                                        ; implicit-def: $vgpr7
; %bb.61:
	s_andn2_saveexec_b64 s[14:15], s[14:15]
; %bb.62:
	v_mov_b32_e32 v6, 0
	v_or_b32_e32 v8, 0x10000, v7
	v_cmp_eq_u32_sdwa vcc, v7, v6 src0_sel:WORD_0 src1_sel:DWORD
	v_cndmask_b32_e32 v6, v8, v7, vcc
; %bb.63:
	s_or_b64 exec, exec, s[14:15]
	global_load_dword v7, v[2:3], off offset:196
	s_mov_b32 s14, 0x7f800000
	s_waitcnt vmcnt(0)
	v_mul_f32_e32 v8, v1, v7
	v_and_b32_e32 v7, 0x7f800000, v8
	v_cmp_ne_u32_e32 vcc, s14, v7
                                        ; implicit-def: $vgpr7
	s_and_saveexec_b64 s[14:15], vcc
	s_xor_b64 s[14:15], exec, s[14:15]
; %bb.64:
	v_bfe_u32 v7, v8, 16, 1
	s_movk_i32 s16, 0x7fff
	v_add3_u32 v7, v8, v7, s16
                                        ; implicit-def: $vgpr8
; %bb.65:
	s_andn2_saveexec_b64 s[14:15], s[14:15]
; %bb.66:
	v_mov_b32_e32 v7, 0
	v_or_b32_e32 v9, 0x10000, v8
	v_cmp_eq_u32_sdwa vcc, v8, v7 src0_sel:WORD_0 src1_sel:DWORD
	v_cndmask_b32_e32 v7, v9, v8, vcc
; %bb.67:
	s_or_b64 exec, exec, s[14:15]
	global_load_dword v2, v[2:3], off offset:200
	s_mov_b32 s14, 0x7f800000
	s_waitcnt vmcnt(0)
	v_mul_f32_e32 v3, v1, v2
	v_and_b32_e32 v2, 0x7f800000, v3
	v_cmp_ne_u32_e32 vcc, s14, v2
                                        ; implicit-def: $vgpr2
	s_and_saveexec_b64 s[14:15], vcc
	s_xor_b64 s[14:15], exec, s[14:15]
; %bb.68:
	v_bfe_u32 v2, v3, 16, 1
	s_movk_i32 s16, 0x7fff
	v_add3_u32 v2, v3, v2, s16
                                        ; implicit-def: $vgpr3
; %bb.69:
	s_andn2_saveexec_b64 s[14:15], s[14:15]
; %bb.70:
	v_mov_b32_e32 v2, 0
	v_or_b32_e32 v8, 0x10000, v3
	v_cmp_eq_u32_sdwa vcc, v3, v2 src0_sel:WORD_0 src1_sel:DWORD
	v_cndmask_b32_e32 v2, v8, v3, vcc
; %bb.71:
	s_or_b64 exec, exec, s[14:15]
	v_mov_b32_e32 v3, 0xcc
	v_lshl_or_b32 v3, v40, 2, v3
	v_add_co_u32_e32 v4, vcc, v4, v3
	v_addc_co_u32_e32 v5, vcc, 0, v5, vcc
	global_load_dword v3, v[4:5], off
	s_mov_b32 s14, 0x7f800000
	s_waitcnt vmcnt(0)
	v_mul_f32_e32 v1, v1, v3
	v_and_b32_e32 v3, 0x7f800000, v1
	v_cmp_ne_u32_e32 vcc, s14, v3
                                        ; implicit-def: $vgpr3
	s_and_saveexec_b64 s[14:15], vcc
	s_xor_b64 s[14:15], exec, s[14:15]
; %bb.72:
	v_bfe_u32 v3, v1, 16, 1
	s_movk_i32 s16, 0x7fff
	v_add3_u32 v3, v1, v3, s16
                                        ; implicit-def: $vgpr1
; %bb.73:
	s_andn2_saveexec_b64 s[14:15], s[14:15]
; %bb.74:
	v_mov_b32_e32 v3, 0
	v_or_b32_e32 v4, 0x10000, v1
	v_cmp_eq_u32_sdwa vcc, v1, v3 src0_sel:WORD_0 src1_sel:DWORD
	v_cndmask_b32_e32 v3, v4, v1, vcc
; %bb.75:
	s_or_b64 exec, exec, s[14:15]
	s_mov_b32 s14, 0x7060302
	v_perm_b32 v28, v7, v6, s14
	v_perm_b32 v29, v3, v2, s14
.LBB0_76:
	s_or_b64 exec, exec, s[12:13]
	s_mov_b32 s48, 0
	s_mov_b32 s49, s48
	;; [unrolled: 1-line block ×4, first 2 shown]
	v_pk_mov_b32 v[10:11], s[48:49], s[48:49] op_sel:[0,1]
	v_pk_mov_b32 v[12:13], s[50:51], s[50:51] op_sel:[0,1]
	s_min_u32 s70, s53, 16
	v_pk_mov_b32 v[2:3], v[10:11], v[10:11] op_sel:[0,1]
	v_pk_mov_b32 v[6:7], v[10:11], v[10:11] op_sel:[0,1]
	;; [unrolled: 1-line block ×3, first 2 shown]
	s_cmp_gt_i32 s68, -1
	v_cmp_gt_u32_e64 s[30:31], s53, v39
	v_cmp_eq_u32_e64 s[28:29], 0, v38
	v_or_b32_e32 v44, 1, v39
	v_or_b32_e32 v43, 2, v39
	;; [unrolled: 1-line block ×3, first 2 shown]
	v_pk_mov_b32 v[4:5], v[12:13], v[12:13] op_sel:[0,1]
	v_pk_mov_b32 v[8:9], v[12:13], v[12:13] op_sel:[0,1]
	;; [unrolled: 1-line block ×3, first 2 shown]
	s_cbranch_scc0 .LBB0_257
; %bb.77:
	s_load_dword s4, s[4:5], 0x80
	s_mul_i32 s14, s69, s52
	s_mul_hi_i32 s13, s69, s52
	s_mul_hi_u32 s15, s14, s7
	s_mul_i32 s13, s13, s7
	s_waitcnt lgkmcnt(0)
	s_add_i32 s5, s4, -1
	s_cmp_lt_u32 s5, 16
	s_cselect_b32 s71, s4, 16
	s_add_i32 s4, s69, -1
	s_add_i32 s72, s68, 1
	s_and_b32 s4, s69, s4
	s_cmp_lg_u32 s4, 0
	s_cselect_b64 s[50:51], -1, 0
	s_ashr_i32 s12, s7, 31
	s_mul_i32 s12, s14, s12
	s_add_i32 s12, s15, s12
	v_mbcnt_lo_u32_b32 v1, -1, 0
	s_ashr_i32 s5, s52, 31
	s_add_i32 s12, s12, s13
	s_mul_i32 s14, s14, s7
	v_mbcnt_hi_u32_b32 v1, -1, v1
	s_add_u32 s10, s14, s10
	v_lshlrev_b32_e32 v3, 2, v1
	v_lshlrev_b32_e32 v4, 5, v38
	s_addc_u32 s11, s12, s11
	v_and_b32_e32 v46, 0x1c0, v3
	v_lshlrev_b32_e32 v3, 1, v39
	v_or_b32_e32 v5, 0x800, v4
	v_lshlrev_b32_e32 v6, 1, v42
	s_lshl_b64 s[10:11], s[10:11], 1
	v_or_b32_e32 v47, v5, v3
	v_add_u32_e32 v48, v5, v6
	v_lshlrev_b32_e32 v5, 5, v0
	s_add_u32 s12, s40, s10
	v_or_b32_e32 v7, 0x600, v5
	s_addc_u32 s13, s41, s11
	v_add_u32_e32 v7, 0x800, v7
	v_lshlrev_b32_e32 v51, 1, v0
	s_add_u32 s10, s42, s10
	v_or_b32_e32 v49, v7, v3
	v_add_u32_e32 v50, v7, v6
	v_mov_b32_e32 v7, s13
	v_add_co_u32_e32 v52, vcc, s12, v51
	s_addc_u32 s11, s43, s11
	v_addc_co_u32_e32 v53, vcc, 0, v7, vcc
	v_mov_b32_e32 v7, s11
	v_add_co_u32_e32 v54, vcc, s10, v51
	v_lshlrev_b32_e32 v8, 1, v40
	v_and_b32_e32 v2, 15, v1
	v_addc_co_u32_e32 v55, vcc, 0, v7, vcc
	v_lshlrev_b32_e32 v7, 7, v38
	v_or_b32_e32 v9, 38, v8
	v_add_u32_e32 v58, v7, v9
	v_or_b32_e32 v9, 0x46, v8
	v_or_b32_e32 v8, 0x66, v8
	v_cmp_gt_u32_e32 vcc, 8, v2
	v_or_b32_e32 v56, v7, v3
	v_add_u32_e32 v57, v7, v6
	v_add_u32_e32 v59, v7, v9
	;; [unrolled: 1-line block ×3, first 2 shown]
	v_cndmask_b32_e64 v7, 0, 1, vcc
	s_mov_b32 s4, s52
	s_ashr_i32 s7, s6, 31
	v_lshlrev_b32_e32 v7, 3, v7
	v_cmp_gt_u32_e32 vcc, 12, v2
	s_lshl_b64 s[58:59], s[6:7], 7
	s_lshl_b64 s[60:61], s[4:5], 1
	v_add_lshl_u32 v61, v7, v1, 2
	v_cndmask_b32_e64 v7, 0, 1, vcc
	s_cmp_lg_u32 s8, 0
	v_lshlrev_b32_e32 v7, 2, v7
	v_cmp_gt_u32_e32 vcc, 14, v2
	s_cselect_b64 s[62:63], -1, 0
	s_ashr_i32 s4, s9, 31
	v_add_lshl_u32 v62, v7, v1, 2
	v_cndmask_b32_e64 v7, 0, 1, vcc
	s_mul_hi_u32 s5, s68, s9
	s_mul_i32 s4, s68, s4
	v_lshlrev_b32_e32 v7, 1, v7
	v_cmp_ne_u32_e32 vcc, 15, v2
	s_add_i32 s5, s5, s4
	s_mul_i32 s4, s68, s9
	v_add_lshl_u32 v63, v7, v1, 2
	v_addc_co_u32_e32 v1, vcc, 0, v1, vcc
	s_add_i32 s52, s69, 0x7fffffff
	s_lshl_b64 s[4:5], s[4:5], 2
	v_lshlrev_b32_e32 v64, 2, v1
	v_lshlrev_b32_e32 v1, 2, v40
	s_add_u32 s73, s44, s4
	s_movk_i32 s4, 0x100
	v_add_u32_e32 v65, 0x1200, v1
	v_add_u32_e32 v66, 0x1280, v1
	v_lshlrev_b32_e32 v1, 2, v42
	v_cmp_gt_u32_e64 s[8:9], s4, v0
	v_add_u32_e32 v67, 0x1280, v1
	v_add_u32_e32 v68, 0x1300, v1
	;; [unrolled: 1-line block ×5, first 2 shown]
	v_lshlrev_b32_e32 v1, 1, v38
	v_lshlrev_b32_e32 v2, 5, v39
	s_movk_i32 s4, 0x1000
	s_addc_u32 s74, s45, s5
	v_or3_b32 v72, v2, v1, s4
	v_lshl_or_b32 v1, v42, 5, v1
	s_abs_i32 s75, s69
	v_add_u32_e32 v73, 0x1000, v1
	v_cvt_f32_u32_e32 v1, s75
	v_or_b32_e32 v2, 0x1000, v4
	v_or_b32_e32 v74, v2, v3
	v_add_u32_e32 v75, v2, v6
	v_rcp_iflag_f32_e32 v2, v1
	s_sub_i32 s4, 0, s75
	v_mov_b32_e32 v45, 0x12c0
	v_mov_b32_e32 v78, 0
	v_mul_f32_e32 v2, 0x4f7ffffe, v2
	v_cvt_u32_f32_e32 v2, v2
	v_cmp_le_u32_e64 s[10:11], s53, v39
	v_cmp_gt_u32_e64 s[12:13], s70, v44
	v_cmp_le_u32_e64 s[14:15], s70, v44
	v_mul_lo_u32 v3, s4, v2
	v_mul_hi_u32 v3, v2, v3
	v_add_u32_e32 v76, v2, v3
	v_mov_b32_e32 v2, 0x800
	v_cmp_gt_u32_e64 s[16:17], s70, v43
	v_cmp_le_u32_e64 s[18:19], s70, v43
	v_cmp_gt_u32_e64 s[20:21], s70, v42
	v_cmp_le_u32_e64 s[22:23], s70, v42
	v_cmp_gt_u32_e64 s[24:25], 64, v0
	v_or_b32_e32 v1, 64, v0
	s_mov_b32 s76, s60
	s_mov_b32 s77, s61
	;; [unrolled: 1-line block ×4, first 2 shown]
	v_add_u32_e32 v77, 0x800, v5
	s_mov_b32 s78, 0x5040100
	s_mov_b32 s79, 0xff800000
	;; [unrolled: 1-line block ×3, first 2 shown]
	s_movk_i32 s81, 0x7fff
	s_mov_b32 s82, 0xffff
	v_lshl_add_u32 v79, v0, 5, v2
	s_mov_b32 s83, s72
	s_mov_b32 s84, 0
	;; [unrolled: 1-line block ×3, first 2 shown]
	v_mov_b32_e32 v10, 0
	v_mov_b32_e32 v11, v78
	;; [unrolled: 1-line block ×16, first 2 shown]
	v_lshl_or_b32 v80, v38, 2, v45
	v_or_b32_e32 v81, 0x1200, v41
	v_or_b32_e32 v82, 0x1280, v41
	;; [unrolled: 1-line block ×5, first 2 shown]
	v_mov_b32_e32 v31, 0
	s_branch .LBB0_79
.LBB0_78:                               ;   in Loop: Header=BB0_79 Depth=1
	s_or_b64 exec, exec, s[4:5]
	v_mul_f32_e32 v10, v10, v86
	v_mul_f32_e32 v11, v11, v87
	;; [unrolled: 1-line block ×16, first 2 shown]
	v_mfma_f32_16x16x16bf16_1k v[10:13], v[18:19], v[20:21], v[10:13]
	s_add_i32 s85, s85, s71
	s_add_i32 s84, s84, 1
	s_sub_i32 s83, s83, s71
	s_cmp_gt_i32 s85, s68
	s_barrier
	v_mfma_f32_16x16x16bf16_1k v[2:5], v[18:19], v[32:33], v[2:5]
	v_mfma_f32_16x16x16bf16_1k v[6:9], v[18:19], v[34:35], v[6:9]
	;; [unrolled: 1-line block ×3, first 2 shown]
	s_cbranch_scc1 .LBB0_257
.LBB0_79:                               ; =>This Loop Header: Depth=1
                                        ;     Child Loop BB0_96 Depth 2
                                        ;     Child Loop BB0_102 Depth 2
	s_sub_i32 s4, s72, s85
	s_min_i32 s86, s4, s71
	v_cmp_le_i32_e64 s[64:65], s86, v38
	v_cmp_gt_i32_e64 s[26:27], s86, v38
	v_add_u32_e32 v30, s85, v38
	s_mov_b64 s[6:7], 0
                                        ; implicit-def: $vgpr18
	s_and_saveexec_b64 s[4:5], s[26:27]
	s_xor_b64 s[4:5], exec, s[4:5]
	s_cbranch_execz .LBB0_85
; %bb.80:                               ;   in Loop: Header=BB0_79 Depth=1
	s_andn2_b64 vcc, exec, s[62:63]
	v_mov_b32_e32 v18, v30
	s_cbranch_vccnz .LBB0_89
; %bb.81:                               ;   in Loop: Header=BB0_79 Depth=1
	s_and_b64 vcc, exec, s[50:51]
	s_cbranch_vccz .LBB0_87
; %bb.82:                               ;   in Loop: Header=BB0_79 Depth=1
	v_cmp_le_i32_e32 vcc, s69, v30
	v_mov_b32_e32 v18, v30
	s_and_saveexec_b64 s[6:7], vcc
; %bb.83:                               ;   in Loop: Header=BB0_79 Depth=1
	v_mul_hi_u32 v18, v30, v76
	v_mul_lo_u32 v18, v18, s75
	v_sub_u32_e32 v18, v30, v18
	v_subrev_u32_e32 v19, s75, v18
	v_cmp_le_u32_e32 vcc, s75, v18
	v_cndmask_b32_e32 v18, v18, v19, vcc
	v_subrev_u32_e32 v19, s75, v18
	v_cmp_le_u32_e32 vcc, s75, v18
	v_cndmask_b32_e32 v18, v18, v19, vcc
; %bb.84:                               ;   in Loop: Header=BB0_79 Depth=1
	s_or_b64 exec, exec, s[6:7]
	s_cbranch_execz .LBB0_88
	s_branch .LBB0_89
.LBB0_85:                               ;   in Loop: Header=BB0_79 Depth=1
	s_andn2_saveexec_b64 s[4:5], s[4:5]
	s_cbranch_execz .LBB0_90
.LBB0_86:                               ;   in Loop: Header=BB0_79 Depth=1
	s_andn2_b64 s[6:7], s[6:7], exec
	s_and_b64 s[34:35], s[0:1], exec
	v_mov_b32_e32 v18, 0
	s_or_b64 s[6:7], s[6:7], s[34:35]
	s_or_b64 exec, exec, s[4:5]
	s_and_saveexec_b64 s[4:5], s[6:7]
	s_cbranch_execnz .LBB0_91
	s_branch .LBB0_92
.LBB0_87:                               ;   in Loop: Header=BB0_79 Depth=1
                                        ; implicit-def: $vgpr18
.LBB0_88:                               ;   in Loop: Header=BB0_79 Depth=1
	v_and_b32_e32 v18, s52, v30
.LBB0_89:                               ;   in Loop: Header=BB0_79 Depth=1
	s_and_b64 s[6:7], s[0:1], exec
	s_andn2_saveexec_b64 s[4:5], s[4:5]
	s_cbranch_execnz .LBB0_86
.LBB0_90:                               ;   in Loop: Header=BB0_79 Depth=1
	s_or_b64 exec, exec, s[4:5]
	s_and_saveexec_b64 s[4:5], s[6:7]
	s_cbranch_execz .LBB0_92
.LBB0_91:                               ;   in Loop: Header=BB0_79 Depth=1
	ds_write_b32 v80, v18
.LBB0_92:                               ;   in Loop: Header=BB0_79 Depth=1
	s_or_b64 exec, exec, s[4:5]
	s_min_i32 s87, s86, 16
	s_lshl_b32 s49, s87, 6
	v_cmp_gt_i32_e32 vcc, s49, v0
	s_waitcnt lgkmcnt(0)
	s_barrier
	s_and_saveexec_b64 s[66:67], vcc
	s_cbranch_execz .LBB0_103
; %bb.93:                               ;   in Loop: Header=BB0_79 Depth=1
	s_mul_i32 s4, s71, s84
	s_sub_i32 s4, s72, s4
	v_mov_b32_e32 v18, s4
	v_min3_i32 v18, s71, v18, 16
	v_readfirstlane_b32 s4, v18
	s_add_i32 s4, s4, -1
	s_and_b32 s88, s4, 0x3ffffff
	s_cmp_lg_u32 s88, 0
	s_cbranch_scc0 .LBB0_100
; %bb.94:                               ;   in Loop: Header=BB0_79 Depth=1
	s_add_i32 s89, s88, -1
	s_cmp_lt_u32 s89, 2
	v_pk_mov_b32 v[18:19], v[0:1], v[0:1] op_sel:[0,1]
	s_cbranch_scc1 .LBB0_97
; %bb.95:                               ;   in Loop: Header=BB0_79 Depth=1
	v_mov_b32_e32 v18, s83
	v_min3_i32 v18, s71, v18, 16
	v_readfirstlane_b32 s4, v18
	s_add_i32 s4, s4, -1
	s_and_b32 s4, s4, 0x3ffffff
	s_add_i32 s4, s4, -1
	s_lshr_b32 s4, s4, 1
	s_add_i32 s4, s4, 1
	s_and_b32 s90, s4, -2
	v_pk_mov_b32 v[18:19], v[0:1], v[0:1] op_sel:[0,1]
.LBB0_96:                               ;   Parent Loop BB0_79 Depth=1
                                        ; =>  This Inner Loop Header: Depth=2
	v_lshrrev_b32_e32 v94, 6, v18
	v_add_u32_e32 v34, 0x80, v18
	v_lshl_add_u32 v35, v94, 2, v45
	v_lshrrev_b32_e32 v95, 6, v34
	ds_read2_b32 v[34:35], v35 offset1:1
	v_lshl_add_u32 v36, v95, 2, v45
	ds_read2_b32 v[36:37], v36 offset1:1
	v_pk_mov_b32 v[20:21], s[44:45], s[44:45] op_sel:[0,1]
	v_pk_mov_b32 v[32:33], s[58:59], s[58:59] op_sel:[0,1]
	s_waitcnt lgkmcnt(1)
	v_ashrrev_i32_e32 v91, 31, v35
	v_ashrrev_i32_e32 v90, 31, v34
	v_mad_u64_u32 v[86:87], s[4:5], s76, v35, v[20:21]
	v_mul_lo_u32 v35, s77, v35
	v_mul_lo_u32 v91, s76, v91
	s_waitcnt lgkmcnt(0)
	v_ashrrev_i32_e32 v93, 31, v36
	v_ashrrev_i32_e32 v96, 31, v37
	v_mad_u64_u32 v[88:89], s[4:5], s60, v34, v[32:33]
	v_mul_lo_u32 v92, s61, v34
	v_mul_lo_u32 v90, s60, v90
	v_mad_u64_u32 v[20:21], s[4:5], s76, v37, v[20:21]
	v_mul_lo_u32 v97, s77, v37
	v_mad_u64_u32 v[32:33], s[4:5], s60, v36, v[32:33]
	v_mul_lo_u32 v98, s61, v36
	v_add3_u32 v87, v35, v87, v91
	v_mul_lo_u32 v91, s76, v96
	v_mul_lo_u32 v93, s60, v93
	v_add_co_u32_e32 v34, vcc, v52, v86
	v_add_co_u32_e64 v36, s[4:5], v54, v88
	v_add_co_u32_e64 v88, s[34:35], v52, v88
	v_add3_u32 v37, v92, v89, v90
	v_add_co_u32_e64 v90, s[36:37], v52, v32
	v_add_co_u32_e64 v92, s[38:39], v52, v20
	v_add_co_u32_e64 v32, s[40:41], v54, v32
	v_add_co_u32_e64 v20, s[42:43], v54, v20
	v_add3_u32 v21, v97, v21, v91
	v_add3_u32 v33, v98, v33, v93
	v_add_co_u32_e64 v86, s[6:7], v54, v86
	v_addc_co_u32_e64 v89, s[34:35], v53, v37, s[34:35]
	v_addc_co_u32_e32 v35, vcc, v53, v87, vcc
	v_addc_co_u32_e64 v91, vcc, v53, v33, s[36:37]
	v_addc_co_u32_e64 v93, vcc, v53, v21, s[38:39]
	;; [unrolled: 1-line block ×6, first 2 shown]
	global_load_ushort v88, v[88:89], off
	s_nop 0
	global_load_ushort v34, v[34:35], off
	s_nop 0
	;; [unrolled: 2-line block ×6, first 2 shown]
	global_load_ushort v21, v[90:91], off
	global_load_ushort v33, v[92:93], off
	v_lshlrev_b32_e32 v37, 1, v19
	s_add_i32 s90, s90, -2
	v_and_b32_e32 v87, 0xffffff80, v37
	v_add_u32_e32 v37, 0x100, v37
	v_add_u32_e32 v19, 0x100, v19
	;; [unrolled: 1-line block ×3, first 2 shown]
	v_lshl_add_u32 v86, v94, 7, v51
	s_cmp_lg_u32 s90, 0
	v_lshl_add_u32 v90, v95, 7, v51
	v_and_b32_e32 v37, 0xffffff80, v37
	v_lshl_add_u32 v89, v94, 1, v79
	v_add_u32_e32 v87, v87, v51
	v_lshl_add_u32 v91, v95, 1, v79
	v_add_u32_e32 v37, v37, v51
	s_waitcnt vmcnt(2)
	v_perm_b32 v20, v20, v32, s78
	v_perm_b32 v35, v36, v35, s78
	ds_write_b16 v86, v88
	ds_write_b16 v87, v34
	ds_write_b32 v89, v35
	s_waitcnt vmcnt(1)
	ds_write_b16 v90, v21
	s_waitcnt vmcnt(0)
	ds_write_b16 v37, v33
	ds_write_b32 v91, v20
	s_cbranch_scc1 .LBB0_96
.LBB0_97:                               ;   in Loop: Header=BB0_79 Depth=1
	s_bitcmp1_b32 s89, 1
	s_cbranch_scc1 .LBB0_99
; %bb.98:                               ;   in Loop: Header=BB0_79 Depth=1
	v_lshrrev_b32_e32 v18, 6, v18
	v_lshl_add_u32 v20, v18, 2, v45
	ds_read2_b32 v[20:21], v20 offset1:1
	v_mov_b32_e32 v32, s44
	v_mov_b32_e32 v33, s45
	v_lshlrev_b32_e32 v19, 1, v19
	v_and_b32_e32 v19, 0xffffff80, v19
	s_waitcnt lgkmcnt(0)
	v_ashrrev_i32_e32 v35, 31, v21
	v_ashrrev_i32_e32 v34, 31, v20
	v_mul_lo_u32 v35, s76, v35
	v_mad_u64_u32 v[32:33], s[4:5], s76, v21, v[32:33]
	v_mul_lo_u32 v21, s77, v21
	v_add3_u32 v33, v21, v33, v35
	v_mul_lo_u32 v21, s60, v34
	v_mov_b32_e32 v34, s58
	v_mov_b32_e32 v35, s59
	v_mad_u64_u32 v[34:35], s[4:5], s60, v20, v[34:35]
	v_mul_lo_u32 v20, s61, v20
	v_add3_u32 v35, v20, v35, v21
	v_add_co_u32_e32 v20, vcc, v52, v34
	v_addc_co_u32_e32 v21, vcc, v53, v35, vcc
	v_add_co_u32_e32 v36, vcc, v52, v32
	v_addc_co_u32_e32 v37, vcc, v53, v33, vcc
	;; [unrolled: 2-line block ×4, first 2 shown]
	global_load_ushort v34, v[34:35], off
	s_nop 0
	global_load_ushort v32, v[32:33], off
	s_nop 0
	global_load_ushort v20, v[20:21], off
	s_nop 0
	global_load_ushort v21, v[36:37], off
	v_lshl_add_u32 v33, v18, 7, v51
	v_lshlrev_b32_e32 v18, 1, v18
	v_lshl_add_u32 v18, v0, 5, v18
	v_add_u32_e32 v19, v19, v51
	s_waitcnt vmcnt(1)
	ds_write_b16 v33, v20
	s_waitcnt vmcnt(0)
	ds_write_b16 v19, v21
	v_perm_b32 v32, v32, v34, s78
	ds_write_b32 v18, v32 offset:2048
.LBB0_99:                               ;   in Loop: Header=BB0_79 Depth=1
	s_add_i32 s88, s88, 1
	s_and_b32 s4, s88, 0x7fffffe
	s_cmp_lg_u32 s88, s4
	v_lshl_or_b32 v18, s4, 6, v0
	s_cselect_b64 s[4:5], -1, 0
	s_and_b64 vcc, exec, s[4:5]
	s_cbranch_vccnz .LBB0_101
	s_branch .LBB0_103
.LBB0_100:                              ;   in Loop: Header=BB0_79 Depth=1
	v_mov_b32_e32 v18, v0
	s_cbranch_execz .LBB0_103
.LBB0_101:                              ;   in Loop: Header=BB0_79 Depth=1
	v_lshrrev_b32_e32 v21, 6, v18
	v_lshl_add_u32 v19, v21, 1, v77
	v_lshl_add_u32 v20, v21, 7, v51
	;; [unrolled: 1-line block ×3, first 2 shown]
	s_mov_b64 s[6:7], 0
.LBB0_102:                              ;   Parent Loop BB0_79 Depth=1
                                        ; =>  This Inner Loop Header: Depth=2
	ds_read_b32 v34, v21
	v_pk_mov_b32 v[32:33], s[58:59], s[58:59] op_sel:[0,1]
	v_add_u32_e32 v18, 64, v18
	v_add_u32_e32 v21, 4, v21
	s_waitcnt lgkmcnt(0)
	v_ashrrev_i32_e32 v35, 31, v34
	v_mad_u64_u32 v[32:33], s[4:5], s60, v34, v[32:33]
	v_mul_lo_u32 v34, s61, v34
	v_mul_lo_u32 v35, s60, v35
	v_add3_u32 v35, v34, v33, v35
	v_add_co_u32_e32 v34, vcc, v54, v32
	v_add_co_u32_e64 v32, s[4:5], v52, v32
	v_addc_co_u32_e64 v33, s[4:5], v53, v35, s[4:5]
	v_addc_co_u32_e32 v35, vcc, v55, v35, vcc
	global_load_ushort v32, v[32:33], off
	s_nop 0
	global_load_ushort v33, v[34:35], off
	v_cmp_le_i32_e32 vcc, s49, v18
	s_or_b64 s[6:7], vcc, s[6:7]
	s_waitcnt vmcnt(1)
	ds_write_b16 v20, v32
	s_waitcnt vmcnt(0)
	ds_write_b16 v19, v33
	v_add_u32_e32 v19, 2, v19
	v_add_u32_e32 v20, 0x80, v20
	s_andn2_b64 exec, exec, s[6:7]
	s_cbranch_execnz .LBB0_102
.LBB0_103:                              ;   in Loop: Header=BB0_79 Depth=1
	s_or_b64 exec, exec, s[66:67]
	v_mov_b32_e32 v32, 0
	v_mov_b32_e32 v18, 0
	;; [unrolled: 1-line block ×3, first 2 shown]
	s_waitcnt lgkmcnt(0)
	s_barrier
	s_and_saveexec_b64 s[4:5], s[26:27]
	s_cbranch_execz .LBB0_107
; %bb.104:                              ;   in Loop: Header=BB0_79 Depth=1
	ds_read_u16 v19, v56 offset:4
	ds_read_b32 v18, v56
	s_waitcnt lgkmcnt(1)
	v_and_b32_e32 v19, 0xffff, v19
	s_and_saveexec_b64 s[6:7], s[8:9]
	s_cbranch_execz .LBB0_106
; %bb.105:                              ;   in Loop: Header=BB0_79 Depth=1
	ds_read_u16 v20, v57
	s_waitcnt lgkmcnt(0)
	v_perm_b32 v19, v20, v19, s78
.LBB0_106:                              ;   in Loop: Header=BB0_79 Depth=1
	s_or_b64 exec, exec, s[6:7]
.LBB0_107:                              ;   in Loop: Header=BB0_79 Depth=1
	s_or_b64 exec, exec, s[4:5]
	s_waitcnt lgkmcnt(0)
	v_mfma_f32_16x16x16bf16_1k v[18:21], v[22:23], v[18:19], 0
	v_mov_b32_e32 v33, 0
	s_and_saveexec_b64 s[4:5], s[26:27]
	s_cbranch_execz .LBB0_111
; %bb.108:                              ;   in Loop: Header=BB0_79 Depth=1
	ds_read_u16 v33, v56 offset:36
	ds_read_b32 v32, v56 offset:32
	s_waitcnt lgkmcnt(1)
	v_and_b32_e32 v33, 0xffff, v33
	s_and_saveexec_b64 s[6:7], s[8:9]
	s_cbranch_execz .LBB0_110
; %bb.109:                              ;   in Loop: Header=BB0_79 Depth=1
	ds_read_u16 v34, v58
	s_waitcnt lgkmcnt(0)
	v_perm_b32 v33, v34, v33, s78
.LBB0_110:                              ;   in Loop: Header=BB0_79 Depth=1
	s_or_b64 exec, exec, s[6:7]
.LBB0_111:                              ;   in Loop: Header=BB0_79 Depth=1
	s_or_b64 exec, exec, s[4:5]
	s_waitcnt lgkmcnt(0)
	v_mfma_f32_16x16x16bf16_1k v[18:21], v[24:25], v[32:33], v[18:21]
	v_mov_b32_e32 v34, 0
	v_mov_b32_e32 v36, 0
	;; [unrolled: 1-line block ×3, first 2 shown]
	s_and_saveexec_b64 s[4:5], s[26:27]
	s_cbranch_execz .LBB0_115
; %bb.112:                              ;   in Loop: Header=BB0_79 Depth=1
	ds_read_u16 v32, v56 offset:68
	ds_read_b32 v36, v56 offset:64
	s_waitcnt lgkmcnt(1)
	v_and_b32_e32 v37, 0xffff, v32
	s_and_saveexec_b64 s[6:7], s[8:9]
	s_cbranch_execz .LBB0_114
; %bb.113:                              ;   in Loop: Header=BB0_79 Depth=1
	ds_read_u16 v32, v59
	s_waitcnt lgkmcnt(0)
	v_perm_b32 v37, v32, v37, s78
.LBB0_114:                              ;   in Loop: Header=BB0_79 Depth=1
	s_or_b64 exec, exec, s[6:7]
.LBB0_115:                              ;   in Loop: Header=BB0_79 Depth=1
	s_or_b64 exec, exec, s[4:5]
	s_waitcnt lgkmcnt(0)
	v_mfma_f32_16x16x16bf16_1k v[18:21], v[26:27], v[36:37], v[18:21]
	v_mov_b32_e32 v35, 0
	s_and_saveexec_b64 s[4:5], s[26:27]
	s_cbranch_execz .LBB0_119
; %bb.116:                              ;   in Loop: Header=BB0_79 Depth=1
	ds_read_u16 v32, v56 offset:100
	ds_read_b32 v34, v56 offset:96
	s_waitcnt lgkmcnt(1)
	v_and_b32_e32 v35, 0xffff, v32
	s_and_saveexec_b64 s[6:7], s[8:9]
	s_cbranch_execz .LBB0_118
; %bb.117:                              ;   in Loop: Header=BB0_79 Depth=1
	ds_read_u16 v32, v60
	s_waitcnt lgkmcnt(0)
	v_perm_b32 v35, v32, v35, s78
.LBB0_118:                              ;   in Loop: Header=BB0_79 Depth=1
	s_or_b64 exec, exec, s[6:7]
.LBB0_119:                              ;   in Loop: Header=BB0_79 Depth=1
	s_or_b64 exec, exec, s[4:5]
	s_waitcnt lgkmcnt(0)
	v_mfma_f32_16x16x16bf16_1k v[18:21], v[28:29], v[34:35], v[18:21]
	v_mov_b32_e32 v36, 0
	s_and_saveexec_b64 s[4:5], s[26:27]
	s_cbranch_execz .LBB0_121
; %bb.120:                              ;   in Loop: Header=BB0_79 Depth=1
	v_lshlrev_b64 v[32:33], 2, v[30:31]
	v_mov_b32_e32 v30, s74
	v_add_co_u32_e32 v32, vcc, s73, v32
	v_addc_co_u32_e32 v33, vcc, v30, v33, vcc
	global_load_dword v36, v[32:33], off
.LBB0_121:                              ;   in Loop: Header=BB0_79 Depth=1
	s_or_b64 exec, exec, s[4:5]
	s_mov_b64 s[4:5], s[64:65]
                                        ; implicit-def: $vgpr32
	s_and_saveexec_b64 s[6:7], s[26:27]
	s_cbranch_execz .LBB0_123
; %bb.122:                              ;   in Loop: Header=BB0_79 Depth=1
	s_andn2_b64 s[4:5], s[64:65], exec
	s_and_b64 s[34:35], s[10:11], exec
	s_waitcnt vmcnt(0)
	s_nop 0
	v_add_f32_e32 v32, v36, v18
	s_or_b64 s[4:5], s[4:5], s[34:35]
	s_or_b64 exec, exec, s[6:7]
	s_and_saveexec_b64 s[6:7], s[4:5]
	s_branch .LBB0_124
.LBB0_123:                              ;   in Loop: Header=BB0_79 Depth=1
	s_or_b64 exec, exec, s[6:7]
	s_and_saveexec_b64 s[6:7], s[4:5]
.LBB0_124:                              ;   in Loop: Header=BB0_79 Depth=1
	v_mov_b32_e32 v32, 0xff800000
; %bb.125:                              ;   in Loop: Header=BB0_79 Depth=1
	s_or_b64 exec, exec, s[6:7]
	s_mov_b64 s[4:5], s[64:65]
                                        ; implicit-def: $vgpr18
	s_and_saveexec_b64 s[6:7], s[26:27]
	s_cbranch_execz .LBB0_127
; %bb.126:                              ;   in Loop: Header=BB0_79 Depth=1
	s_andn2_b64 s[4:5], s[64:65], exec
	s_and_b64 s[34:35], s[14:15], exec
	s_waitcnt vmcnt(0)
	v_add_f32_e32 v18, v36, v19
	s_or_b64 s[4:5], s[4:5], s[34:35]
	s_or_b64 exec, exec, s[6:7]
	s_and_saveexec_b64 s[6:7], s[4:5]
	s_branch .LBB0_128
.LBB0_127:                              ;   in Loop: Header=BB0_79 Depth=1
	s_or_b64 exec, exec, s[6:7]
	s_and_saveexec_b64 s[6:7], s[4:5]
.LBB0_128:                              ;   in Loop: Header=BB0_79 Depth=1
	v_mov_b32_e32 v18, 0xff800000
; %bb.129:                              ;   in Loop: Header=BB0_79 Depth=1
	s_or_b64 exec, exec, s[6:7]
	s_mov_b64 s[4:5], s[64:65]
                                        ; implicit-def: $vgpr33
	s_and_saveexec_b64 s[6:7], s[26:27]
	s_cbranch_execz .LBB0_131
; %bb.130:                              ;   in Loop: Header=BB0_79 Depth=1
	s_andn2_b64 s[4:5], s[64:65], exec
	s_and_b64 s[34:35], s[18:19], exec
	s_waitcnt vmcnt(0)
	v_add_f32_e32 v33, v36, v20
	s_or_b64 s[4:5], s[4:5], s[34:35]
	s_or_b64 exec, exec, s[6:7]
	s_and_saveexec_b64 s[6:7], s[4:5]
	s_branch .LBB0_132
.LBB0_131:                              ;   in Loop: Header=BB0_79 Depth=1
	s_or_b64 exec, exec, s[6:7]
	s_and_saveexec_b64 s[6:7], s[4:5]
.LBB0_132:                              ;   in Loop: Header=BB0_79 Depth=1
	v_mov_b32_e32 v33, 0xff800000
; %bb.133:                              ;   in Loop: Header=BB0_79 Depth=1
	s_or_b64 exec, exec, s[6:7]
	s_mov_b64 s[4:5], s[64:65]
                                        ; implicit-def: $vgpr30
	s_and_saveexec_b64 s[6:7], s[26:27]
	s_cbranch_execz .LBB0_135
; %bb.134:                              ;   in Loop: Header=BB0_79 Depth=1
	s_andn2_b64 s[4:5], s[64:65], exec
	s_and_b64 s[34:35], s[22:23], exec
	s_waitcnt vmcnt(0)
	v_add_f32_e32 v30, v36, v21
	s_or_b64 s[4:5], s[4:5], s[34:35]
	s_or_b64 exec, exec, s[6:7]
	s_and_saveexec_b64 s[6:7], s[4:5]
	s_cbranch_execnz .LBB0_136
	s_branch .LBB0_137
.LBB0_135:                              ;   in Loop: Header=BB0_79 Depth=1
	s_or_b64 exec, exec, s[6:7]
	s_and_saveexec_b64 s[6:7], s[4:5]
.LBB0_136:                              ;   in Loop: Header=BB0_79 Depth=1
	v_mov_b32_e32 v30, 0xff800000
.LBB0_137:                              ;   in Loop: Header=BB0_79 Depth=1
	s_or_b64 exec, exec, s[6:7]
	ds_bpermute_b32 v19, v61, v32
	v_max_f32_e32 v20, v32, v32
	ds_bpermute_b32 v21, v61, v18
	v_max_f32_e32 v34, v18, v18
	ds_bpermute_b32 v35, v61, v33
	s_waitcnt lgkmcnt(2)
	v_max_f32_e32 v19, v19, v19
	v_max_f32_e32 v19, v20, v19
	ds_bpermute_b32 v20, v62, v19
	s_waitcnt lgkmcnt(2)
	v_max_f32_e32 v21, v21, v21
	v_max_f32_e32 v21, v34, v21
	ds_bpermute_b32 v34, v62, v21
	ds_bpermute_b32 v37, v61, v30
	s_waitcnt lgkmcnt(2)
	v_max_f32_e32 v20, v20, v20
	v_max_f32_e32 v19, v19, v20
	ds_bpermute_b32 v20, v63, v19
	s_waitcnt lgkmcnt(2)
	v_max_f32_e32 v34, v34, v34
	v_max_f32_e32 v21, v21, v34
	ds_bpermute_b32 v34, v63, v21
	s_waitcnt vmcnt(0)
	v_max_f32_e32 v36, v33, v33
	s_waitcnt lgkmcnt(1)
	v_max_f32_e32 v20, v20, v20
	v_max_f32_e32 v19, v19, v20
	ds_bpermute_b32 v20, v64, v19
	v_max_f32_e32 v35, v35, v35
	s_waitcnt lgkmcnt(1)
	v_max_f32_e32 v34, v34, v34
	v_max_f32_e32 v34, v21, v34
	ds_bpermute_b32 v86, v64, v34
	s_waitcnt lgkmcnt(1)
	v_max_f32_e32 v20, v20, v20
	v_max_f32_e32 v19, v19, v20
	ds_bpermute_b32 v21, v46, v19
	v_max_f32_e32 v19, v36, v35
	ds_bpermute_b32 v20, v62, v19
	v_max_f32_e32 v35, v37, v37
	v_max_f32_e32 v36, v30, v30
	;; [unrolled: 1-line block ×3, first 2 shown]
	ds_bpermute_b32 v36, v62, v35
	s_waitcnt lgkmcnt(1)
	v_max_f32_e32 v20, v20, v20
	v_max_f32_e32 v19, v19, v20
	ds_bpermute_b32 v20, v63, v19
	v_max_f32_e32 v37, v86, v86
	s_waitcnt lgkmcnt(1)
	v_max_f32_e32 v36, v36, v36
	v_max_f32_e32 v35, v35, v36
	ds_bpermute_b32 v36, v63, v35
	s_waitcnt lgkmcnt(1)
	v_max_f32_e32 v20, v20, v20
	v_max_f32_e32 v19, v19, v20
	ds_bpermute_b32 v20, v64, v19
	v_max_f32_e32 v34, v34, v37
	s_waitcnt lgkmcnt(1)
	v_max_f32_e32 v36, v36, v36
	v_max_f32_e32 v35, v35, v36
	ds_bpermute_b32 v36, v64, v35
	s_waitcnt lgkmcnt(1)
	v_max_f32_e32 v20, v20, v20
	v_max_f32_e32 v19, v19, v20
	ds_bpermute_b32 v20, v46, v19
	ds_bpermute_b32 v34, v46, v34
	s_waitcnt lgkmcnt(2)
	v_max_f32_e32 v19, v36, v36
	v_max_f32_e32 v19, v35, v19
	ds_bpermute_b32 v19, v46, v19
	s_and_saveexec_b64 s[4:5], s[28:29]
	s_cbranch_execz .LBB0_142
; %bb.138:                              ;   in Loop: Header=BB0_79 Depth=1
	ds_read_b32 v35, v82
	v_max_f32_e32 v21, v21, v21
	s_waitcnt lgkmcnt(0)
	ds_write_b32 v81, v35
	v_max_f32_e32 v35, v35, v35
	v_max_f32_e32 v21, v35, v21
	ds_write_b32 v82, v21
	s_and_saveexec_b64 s[6:7], s[24:25]
	s_cbranch_execz .LBB0_163
; %bb.139:                              ;   in Loop: Header=BB0_79 Depth=1
	ds_read_b32 v21, v66 offset:4
	v_max_f32_e32 v34, v34, v34
	s_waitcnt lgkmcnt(0)
	ds_write_b32 v65, v21 offset:4
	v_max_f32_e32 v21, v21, v21
	v_max_f32_e32 v21, v21, v34
	ds_write_b32 v66, v21 offset:4
	s_or_b64 exec, exec, s[6:7]
	s_and_saveexec_b64 s[6:7], s[24:25]
	s_cbranch_execnz .LBB0_164
.LBB0_140:                              ;   in Loop: Header=BB0_79 Depth=1
	s_or_b64 exec, exec, s[6:7]
	s_and_b64 exec, exec, s[24:25]
	s_cbranch_execz .LBB0_142
.LBB0_141:                              ;   in Loop: Header=BB0_79 Depth=1
	ds_read_b32 v20, v66 offset:12
	v_max_f32_e32 v19, v19, v19
	s_waitcnt lgkmcnt(0)
	ds_write_b32 v65, v20 offset:12
	v_max_f32_e32 v20, v20, v20
	v_max_f32_e32 v19, v20, v19
	ds_write_b32 v66, v19 offset:12
.LBB0_142:                              ;   in Loop: Header=BB0_79 Depth=1
	s_or_b64 exec, exec, s[4:5]
	s_waitcnt lgkmcnt(2)
	v_mov_b32_e32 v20, 0
	v_mov_b32_e32 v21, 0
	s_waitcnt lgkmcnt(0)
	s_barrier
	s_and_saveexec_b64 s[4:5], s[26:27]
	s_cbranch_execz .LBB0_144
; %bb.143:                              ;   in Loop: Header=BB0_79 Depth=1
	ds_read_b32 v19, v82
	s_waitcnt lgkmcnt(0)
	v_sub_f32_e32 v21, v32, v19
	v_mul_f32_e32 v21, 0x3fb8aa3b, v21
	v_exp_f32_e32 v21, v21
	v_cmp_lg_f32_e32 vcc, s79, v19
	s_and_b64 vcc, s[30:31], vcc
	v_cndmask_b32_e32 v21, 0, v21, vcc
.LBB0_144:                              ;   in Loop: Header=BB0_79 Depth=1
	s_or_b64 exec, exec, s[4:5]
	ds_bpermute_b32 v19, v61, v21
	s_waitcnt lgkmcnt(0)
	v_add_f32_e32 v19, v21, v19
	ds_bpermute_b32 v32, v62, v19
	s_waitcnt lgkmcnt(0)
	v_add_f32_e32 v19, v19, v32
	;; [unrolled: 3-line block ×4, first 2 shown]
	ds_bpermute_b32 v35, v46, v19
	s_and_saveexec_b64 s[4:5], s[26:27]
	s_cbranch_execz .LBB0_146
; %bb.145:                              ;   in Loop: Header=BB0_79 Depth=1
	ds_read_b32 v19, v82 offset:4
	s_waitcnt lgkmcnt(0)
	v_sub_f32_e32 v18, v18, v19
	v_mul_f32_e32 v18, 0x3fb8aa3b, v18
	v_exp_f32_e32 v18, v18
	v_cmp_lg_f32_e32 vcc, s79, v19
	s_and_b64 vcc, s[12:13], vcc
	v_cndmask_b32_e32 v20, 0, v18, vcc
.LBB0_146:                              ;   in Loop: Header=BB0_79 Depth=1
	s_or_b64 exec, exec, s[4:5]
	ds_bpermute_b32 v18, v61, v20
	s_waitcnt lgkmcnt(0)
	v_add_f32_e32 v18, v20, v18
	ds_bpermute_b32 v19, v62, v18
	s_waitcnt lgkmcnt(0)
	v_add_f32_e32 v18, v18, v19
	;; [unrolled: 3-line block ×4, first 2 shown]
	ds_bpermute_b32 v34, v46, v18
	v_mov_b32_e32 v19, 0
	s_and_saveexec_b64 s[4:5], s[26:27]
	s_cbranch_execz .LBB0_148
; %bb.147:                              ;   in Loop: Header=BB0_79 Depth=1
	ds_read_b32 v18, v82 offset:8
	s_waitcnt lgkmcnt(0)
	v_sub_f32_e32 v19, v33, v18
	v_mul_f32_e32 v19, 0x3fb8aa3b, v19
	v_exp_f32_e32 v19, v19
	v_cmp_lg_f32_e32 vcc, s79, v18
	s_and_b64 vcc, s[16:17], vcc
	v_cndmask_b32_e32 v19, 0, v19, vcc
.LBB0_148:                              ;   in Loop: Header=BB0_79 Depth=1
	s_or_b64 exec, exec, s[4:5]
	ds_bpermute_b32 v18, v61, v19
	v_mov_b32_e32 v33, 0xff800000
	s_waitcnt lgkmcnt(0)
	v_add_f32_e32 v18, v19, v18
	ds_bpermute_b32 v32, v62, v18
	s_waitcnt lgkmcnt(0)
	v_add_f32_e32 v18, v18, v32
	ds_bpermute_b32 v32, v63, v18
	;; [unrolled: 3-line block ×4, first 2 shown]
	s_and_saveexec_b64 s[4:5], s[24:25]
	s_cbranch_execz .LBB0_150
; %bb.149:                              ;   in Loop: Header=BB0_79 Depth=1
	ds_read_b32 v33, v67
.LBB0_150:                              ;   in Loop: Header=BB0_79 Depth=1
	s_or_b64 exec, exec, s[4:5]
	v_mov_b32_e32 v18, 0
	s_and_saveexec_b64 s[4:5], s[26:27]
	s_cbranch_execz .LBB0_152
; %bb.151:                              ;   in Loop: Header=BB0_79 Depth=1
	s_waitcnt lgkmcnt(0)
	v_sub_f32_e32 v18, v30, v33
	v_mul_f32_e32 v18, 0x3fb8aa3b, v18
	v_exp_f32_e32 v18, v18
	v_cmp_lg_f32_e32 vcc, s79, v33
	s_and_b64 vcc, s[20:21], vcc
	v_cndmask_b32_e32 v18, 0, v18, vcc
.LBB0_152:                              ;   in Loop: Header=BB0_79 Depth=1
	s_or_b64 exec, exec, s[4:5]
	ds_bpermute_b32 v30, v61, v18
	s_waitcnt lgkmcnt(0)
	v_add_f32_e32 v30, v18, v30
	ds_bpermute_b32 v33, v62, v30
	s_waitcnt lgkmcnt(0)
	v_add_f32_e32 v30, v30, v33
	;; [unrolled: 3-line block ×4, first 2 shown]
	ds_bpermute_b32 v30, v46, v30
	s_and_saveexec_b64 s[6:7], s[28:29]
	s_cbranch_execz .LBB0_181
; %bb.153:                              ;   in Loop: Header=BB0_79 Depth=1
	s_and_saveexec_b64 s[4:5], s[10:11]
	s_xor_b64 s[4:5], exec, s[4:5]
	s_cbranch_execz .LBB0_165
; %bb.154:                              ;   in Loop: Header=BB0_79 Depth=1
	ds_write_b32 v84, v31
	ds_write_b32 v83, v31
                                        ; implicit-def: $vgpr35
	s_andn2_saveexec_b64 s[26:27], s[4:5]
	s_cbranch_execnz .LBB0_166
.LBB0_155:                              ;   in Loop: Header=BB0_79 Depth=1
	s_or_b64 exec, exec, s[26:27]
	s_and_saveexec_b64 s[4:5], s[14:15]
	s_xor_b64 s[4:5], exec, s[4:5]
	s_cbranch_execz .LBB0_169
.LBB0_156:                              ;   in Loop: Header=BB0_79 Depth=1
	ds_write_b32 v84, v31 offset:4
	ds_write_b32 v83, v31 offset:4
                                        ; implicit-def: $vgpr34
	s_andn2_saveexec_b64 s[26:27], s[4:5]
	s_cbranch_execnz .LBB0_170
.LBB0_157:                              ;   in Loop: Header=BB0_79 Depth=1
	s_or_b64 exec, exec, s[26:27]
	s_and_saveexec_b64 s[4:5], s[18:19]
	s_xor_b64 s[4:5], exec, s[4:5]
	s_cbranch_execz .LBB0_173
.LBB0_158:                              ;   in Loop: Header=BB0_79 Depth=1
	ds_write_b32 v84, v31 offset:8
	ds_write_b32 v83, v31 offset:8
                                        ; implicit-def: $vgpr32
	s_andn2_saveexec_b64 s[26:27], s[4:5]
	s_cbranch_execnz .LBB0_174
.LBB0_159:                              ;   in Loop: Header=BB0_79 Depth=1
	s_or_b64 exec, exec, s[26:27]
	s_and_saveexec_b64 s[4:5], s[22:23]
	s_xor_b64 s[4:5], exec, s[4:5]
	s_cbranch_execz .LBB0_177
.LBB0_160:                              ;   in Loop: Header=BB0_79 Depth=1
	s_and_saveexec_b64 s[26:27], s[24:25]
	s_cbranch_execz .LBB0_162
; %bb.161:                              ;   in Loop: Header=BB0_79 Depth=1
	ds_write_b32 v69, v31
	ds_write_b32 v68, v31
.LBB0_162:                              ;   in Loop: Header=BB0_79 Depth=1
	s_or_b64 exec, exec, s[26:27]
                                        ; implicit-def: $vgpr30
	s_andn2_saveexec_b64 s[4:5], s[4:5]
	s_cbranch_execz .LBB0_181
	s_branch .LBB0_178
.LBB0_163:                              ;   in Loop: Header=BB0_79 Depth=1
	s_or_b64 exec, exec, s[6:7]
	s_and_saveexec_b64 s[6:7], s[24:25]
	s_cbranch_execz .LBB0_140
.LBB0_164:                              ;   in Loop: Header=BB0_79 Depth=1
	ds_read_b32 v21, v66 offset:8
	v_max_f32_e32 v20, v20, v20
	s_waitcnt lgkmcnt(0)
	ds_write_b32 v65, v21 offset:8
	v_max_f32_e32 v21, v21, v21
	v_max_f32_e32 v20, v21, v20
	ds_write_b32 v66, v20 offset:8
	s_or_b64 exec, exec, s[6:7]
	s_and_b64 exec, exec, s[24:25]
	s_cbranch_execnz .LBB0_141
	s_branch .LBB0_142
.LBB0_165:                              ;   in Loop: Header=BB0_79 Depth=1
	s_andn2_saveexec_b64 s[26:27], s[4:5]
	s_cbranch_execz .LBB0_155
.LBB0_166:                              ;   in Loop: Header=BB0_79 Depth=1
	ds_read_b32 v37, v81
	ds_read_b32 v33, v85
	v_mov_b32_e32 v36, 0
	s_waitcnt lgkmcnt(1)
	v_cmp_neq_f32_e32 vcc, s79, v37
	s_and_saveexec_b64 s[4:5], vcc
	s_cbranch_execz .LBB0_168
; %bb.167:                              ;   in Loop: Header=BB0_79 Depth=1
	ds_read_b32 v36, v82
	s_waitcnt lgkmcnt(0)
	v_sub_f32_e32 v36, v37, v36
	v_mul_f32_e32 v36, 0x3fb8aa3b, v36
	v_exp_f32_e32 v36, v36
.LBB0_168:                              ;   in Loop: Header=BB0_79 Depth=1
	s_or_b64 exec, exec, s[4:5]
	s_waitcnt lgkmcnt(0)
	v_mul_f32_e32 v37, v33, v36
	v_fmac_f32_e32 v35, v33, v36
	v_div_scale_f32 v33, s[4:5], v35, v35, v37
	v_rcp_f32_e32 v36, v33
	v_fma_f32 v86, -v33, v36, 1.0
	v_fmac_f32_e32 v36, v86, v36
	v_div_scale_f32 v86, vcc, v37, v35, v37
	v_mul_f32_e32 v87, v86, v36
	v_fma_f32 v88, -v33, v87, v86
	v_fmac_f32_e32 v87, v88, v36
	v_fma_f32 v33, -v33, v87, v86
	v_div_fmas_f32 v33, v33, v36, v87
	v_div_scale_f32 v36, s[4:5], v35, v35, 1.0
	v_rcp_f32_e32 v86, v36
	v_div_fixup_f32 v33, v33, v35, v37
	v_cmp_lt_f32_e64 s[4:5], 0, v35
	v_cndmask_b32_e64 v33, 0, v33, s[4:5]
	v_fma_f32 v37, -v36, v86, 1.0
	v_fmac_f32_e32 v86, v37, v86
	v_div_scale_f32 v37, vcc, 1.0, v35, 1.0
	v_mul_f32_e32 v87, v37, v86
	v_fma_f32 v88, -v36, v87, v37
	v_fmac_f32_e32 v87, v88, v86
	v_fma_f32 v36, -v36, v87, v37
	v_div_fmas_f32 v36, v36, v86, v87
	v_div_fixup_f32 v36, v36, v35, 1.0
	v_cndmask_b32_e64 v36, 0, v36, s[4:5]
	ds_write_b32 v84, v33
	ds_write_b32 v83, v36
	;; [unrolled: 1-line block ×3, first 2 shown]
	s_or_b64 exec, exec, s[26:27]
	s_and_saveexec_b64 s[4:5], s[14:15]
	s_xor_b64 s[4:5], exec, s[4:5]
	s_cbranch_execnz .LBB0_156
.LBB0_169:                              ;   in Loop: Header=BB0_79 Depth=1
	s_andn2_saveexec_b64 s[26:27], s[4:5]
	s_cbranch_execz .LBB0_157
.LBB0_170:                              ;   in Loop: Header=BB0_79 Depth=1
	ds_read_b32 v36, v81 offset:4
	ds_read_b32 v33, v85 offset:4
	v_mov_b32_e32 v35, 0
	s_waitcnt lgkmcnt(1)
	v_cmp_neq_f32_e32 vcc, s79, v36
	s_and_saveexec_b64 s[4:5], vcc
	s_cbranch_execz .LBB0_172
; %bb.171:                              ;   in Loop: Header=BB0_79 Depth=1
	ds_read_b32 v35, v82 offset:4
	s_waitcnt lgkmcnt(0)
	v_sub_f32_e32 v35, v36, v35
	v_mul_f32_e32 v35, 0x3fb8aa3b, v35
	v_exp_f32_e32 v35, v35
.LBB0_172:                              ;   in Loop: Header=BB0_79 Depth=1
	s_or_b64 exec, exec, s[4:5]
	s_waitcnt lgkmcnt(0)
	v_mul_f32_e32 v36, v33, v35
	v_fmac_f32_e32 v34, v33, v35
	v_div_scale_f32 v33, s[4:5], v34, v34, v36
	v_rcp_f32_e32 v35, v33
	v_fma_f32 v37, -v33, v35, 1.0
	v_fmac_f32_e32 v35, v37, v35
	v_div_scale_f32 v37, vcc, v36, v34, v36
	v_mul_f32_e32 v86, v37, v35
	v_fma_f32 v87, -v33, v86, v37
	v_fmac_f32_e32 v86, v87, v35
	v_fma_f32 v33, -v33, v86, v37
	v_div_fmas_f32 v33, v33, v35, v86
	v_div_scale_f32 v35, s[4:5], v34, v34, 1.0
	v_rcp_f32_e32 v37, v35
	v_div_fixup_f32 v33, v33, v34, v36
	v_cmp_lt_f32_e64 s[4:5], 0, v34
	v_cndmask_b32_e64 v33, 0, v33, s[4:5]
	v_fma_f32 v36, -v35, v37, 1.0
	v_fmac_f32_e32 v37, v36, v37
	v_div_scale_f32 v36, vcc, 1.0, v34, 1.0
	v_mul_f32_e32 v86, v36, v37
	v_fma_f32 v87, -v35, v86, v36
	v_fmac_f32_e32 v86, v87, v37
	v_fma_f32 v35, -v35, v86, v36
	v_div_fmas_f32 v35, v35, v37, v86
	v_div_fixup_f32 v35, v35, v34, 1.0
	v_cndmask_b32_e64 v35, 0, v35, s[4:5]
	ds_write_b32 v84, v33 offset:4
	ds_write_b32 v83, v35 offset:4
	;; [unrolled: 1-line block ×3, first 2 shown]
	s_or_b64 exec, exec, s[26:27]
	s_and_saveexec_b64 s[4:5], s[18:19]
	s_xor_b64 s[4:5], exec, s[4:5]
	s_cbranch_execnz .LBB0_158
.LBB0_173:                              ;   in Loop: Header=BB0_79 Depth=1
	s_andn2_saveexec_b64 s[26:27], s[4:5]
	s_cbranch_execz .LBB0_159
.LBB0_174:                              ;   in Loop: Header=BB0_79 Depth=1
	ds_read_b32 v35, v81 offset:8
	ds_read_b32 v33, v85 offset:8
	v_mov_b32_e32 v34, 0
	s_waitcnt lgkmcnt(1)
	v_cmp_neq_f32_e32 vcc, s79, v35
	s_and_saveexec_b64 s[4:5], vcc
	s_cbranch_execz .LBB0_176
; %bb.175:                              ;   in Loop: Header=BB0_79 Depth=1
	ds_read_b32 v34, v82 offset:8
	s_waitcnt lgkmcnt(0)
	v_sub_f32_e32 v34, v35, v34
	v_mul_f32_e32 v34, 0x3fb8aa3b, v34
	v_exp_f32_e32 v34, v34
.LBB0_176:                              ;   in Loop: Header=BB0_79 Depth=1
	s_or_b64 exec, exec, s[4:5]
	s_waitcnt lgkmcnt(0)
	v_mul_f32_e32 v35, v33, v34
	v_fmac_f32_e32 v32, v33, v34
	v_div_scale_f32 v33, s[4:5], v32, v32, v35
	v_rcp_f32_e32 v34, v33
	v_fma_f32 v36, -v33, v34, 1.0
	v_fmac_f32_e32 v34, v36, v34
	v_div_scale_f32 v36, vcc, v35, v32, v35
	v_mul_f32_e32 v37, v36, v34
	v_fma_f32 v86, -v33, v37, v36
	v_fmac_f32_e32 v37, v86, v34
	v_fma_f32 v33, -v33, v37, v36
	v_div_fmas_f32 v33, v33, v34, v37
	v_div_scale_f32 v34, s[4:5], v32, v32, 1.0
	v_rcp_f32_e32 v36, v34
	v_div_fixup_f32 v33, v33, v32, v35
	v_cmp_lt_f32_e64 s[4:5], 0, v32
	v_cndmask_b32_e64 v33, 0, v33, s[4:5]
	v_fma_f32 v35, -v34, v36, 1.0
	v_fmac_f32_e32 v36, v35, v36
	v_div_scale_f32 v35, vcc, 1.0, v32, 1.0
	v_mul_f32_e32 v37, v35, v36
	v_fma_f32 v86, -v34, v37, v35
	v_fmac_f32_e32 v37, v86, v36
	v_fma_f32 v34, -v34, v37, v35
	v_div_fmas_f32 v34, v34, v36, v37
	v_div_fixup_f32 v34, v34, v32, 1.0
	v_cndmask_b32_e64 v34, 0, v34, s[4:5]
	ds_write_b32 v84, v33 offset:8
	ds_write_b32 v83, v34 offset:8
	;; [unrolled: 1-line block ×3, first 2 shown]
	s_or_b64 exec, exec, s[26:27]
	s_and_saveexec_b64 s[4:5], s[22:23]
	s_xor_b64 s[4:5], exec, s[4:5]
	s_cbranch_execnz .LBB0_160
.LBB0_177:                              ;   in Loop: Header=BB0_79 Depth=1
	s_andn2_saveexec_b64 s[4:5], s[4:5]
	s_cbranch_execz .LBB0_181
.LBB0_178:                              ;   in Loop: Header=BB0_79 Depth=1
	ds_read_b32 v34, v70
	ds_read_b32 v32, v71
	v_mov_b32_e32 v33, 0
	s_waitcnt lgkmcnt(1)
	v_cmp_neq_f32_e32 vcc, s79, v34
	s_and_saveexec_b64 s[4:5], vcc
	s_cbranch_execz .LBB0_180
; %bb.179:                              ;   in Loop: Header=BB0_79 Depth=1
	ds_read_b32 v33, v67
	s_waitcnt lgkmcnt(0)
	v_sub_f32_e32 v33, v34, v33
	v_mul_f32_e32 v33, 0x3fb8aa3b, v33
	v_exp_f32_e32 v33, v33
.LBB0_180:                              ;   in Loop: Header=BB0_79 Depth=1
	s_or_b64 exec, exec, s[4:5]
	s_waitcnt lgkmcnt(0)
	v_mul_f32_e32 v34, v32, v33
	v_fmac_f32_e32 v30, v32, v33
	v_div_scale_f32 v32, s[4:5], v30, v30, v34
	v_rcp_f32_e32 v33, v32
	v_fma_f32 v35, -v32, v33, 1.0
	v_fmac_f32_e32 v33, v35, v33
	v_div_scale_f32 v35, vcc, v34, v30, v34
	v_mul_f32_e32 v36, v35, v33
	v_fma_f32 v37, -v32, v36, v35
	v_fmac_f32_e32 v36, v37, v33
	v_fma_f32 v32, -v32, v36, v35
	v_div_fmas_f32 v32, v32, v33, v36
	v_div_scale_f32 v33, s[4:5], v30, v30, 1.0
	v_rcp_f32_e32 v35, v33
	v_div_fixup_f32 v32, v32, v30, v34
	v_cmp_lt_f32_e64 s[4:5], 0, v30
	v_cndmask_b32_e64 v32, 0, v32, s[4:5]
	v_fma_f32 v34, -v33, v35, 1.0
	v_fmac_f32_e32 v35, v34, v35
	v_div_scale_f32 v34, vcc, 1.0, v30, 1.0
	v_mul_f32_e32 v36, v34, v35
	v_fma_f32 v37, -v33, v36, v34
	v_fmac_f32_e32 v36, v37, v35
	v_fma_f32 v33, -v33, v36, v34
	v_div_fmas_f32 v33, v33, v35, v36
	v_div_fixup_f32 v33, v33, v30, 1.0
	v_cndmask_b32_e64 v33, 0, v33, s[4:5]
	ds_write_b32 v69, v32
	ds_write_b32 v68, v33
	;; [unrolled: 1-line block ×3, first 2 shown]
.LBB0_181:                              ;   in Loop: Header=BB0_79 Depth=1
	s_or_b64 exec, exec, s[6:7]
	s_waitcnt lgkmcnt(0)
	v_mov_b32_e32 v30, 0
	v_mov_b32_e32 v86, 0
	s_barrier
	s_and_saveexec_b64 s[4:5], s[30:31]
	s_cbranch_execz .LBB0_183
; %bb.182:                              ;   in Loop: Header=BB0_79 Depth=1
	ds_read_b32 v86, v84
.LBB0_183:                              ;   in Loop: Header=BB0_79 Depth=1
	s_or_b64 exec, exec, s[4:5]
	s_or_b64 s[4:5], s[64:65], s[10:11]
	s_xor_b64 s[6:7], s[4:5], -1
	s_and_saveexec_b64 s[4:5], s[6:7]
	s_cbranch_execz .LBB0_185
; %bb.184:                              ;   in Loop: Header=BB0_79 Depth=1
	ds_read_b32 v30, v83
	s_waitcnt lgkmcnt(0)
	v_mul_f32_e32 v30, v21, v30
.LBB0_185:                              ;   in Loop: Header=BB0_79 Depth=1
	s_or_b64 exec, exec, s[4:5]
	v_and_b32_e32 v21, 0x7f800000, v30
	v_cmp_ne_u32_e32 vcc, s80, v21
                                        ; implicit-def: $vgpr21
	s_and_saveexec_b64 s[4:5], vcc
	s_xor_b64 s[4:5], exec, s[4:5]
; %bb.186:                              ;   in Loop: Header=BB0_79 Depth=1
	v_bfe_u32 v21, v30, 16, 1
	v_add3_u32 v21, v30, v21, s81
                                        ; implicit-def: $vgpr30
; %bb.187:                              ;   in Loop: Header=BB0_79 Depth=1
	s_andn2_saveexec_b64 s[4:5], s[4:5]
; %bb.188:                              ;   in Loop: Header=BB0_79 Depth=1
	v_or_b32_e32 v21, 0x10000, v30
	v_cmp_eq_u32_sdwa vcc, v30, v78 src0_sel:WORD_0 src1_sel:DWORD
	v_cndmask_b32_e32 v21, v21, v30, vcc
; %bb.189:                              ;   in Loop: Header=BB0_79 Depth=1
	s_or_b64 exec, exec, s[4:5]
	ds_write_b16_d16_hi v72, v21
	v_mov_b32_e32 v21, 0
	v_mov_b32_e32 v87, 0
	s_and_saveexec_b64 s[4:5], s[12:13]
	s_cbranch_execz .LBB0_191
; %bb.190:                              ;   in Loop: Header=BB0_79 Depth=1
	ds_read_b32 v87, v84 offset:4
.LBB0_191:                              ;   in Loop: Header=BB0_79 Depth=1
	s_or_b64 exec, exec, s[4:5]
	s_or_b64 s[4:5], s[64:65], s[14:15]
	s_xor_b64 s[6:7], s[4:5], -1
	s_and_saveexec_b64 s[4:5], s[6:7]
	s_cbranch_execz .LBB0_193
; %bb.192:                              ;   in Loop: Header=BB0_79 Depth=1
	ds_read_b32 v21, v83 offset:4
	s_waitcnt lgkmcnt(0)
	v_mul_f32_e32 v21, v20, v21
.LBB0_193:                              ;   in Loop: Header=BB0_79 Depth=1
	s_or_b64 exec, exec, s[4:5]
	v_and_b32_e32 v20, 0x7f800000, v21
	v_cmp_ne_u32_e32 vcc, s80, v20
                                        ; implicit-def: $vgpr20
	s_and_saveexec_b64 s[4:5], vcc
	s_xor_b64 s[4:5], exec, s[4:5]
; %bb.194:                              ;   in Loop: Header=BB0_79 Depth=1
	v_bfe_u32 v20, v21, 16, 1
	v_add3_u32 v20, v21, v20, s81
                                        ; implicit-def: $vgpr21
; %bb.195:                              ;   in Loop: Header=BB0_79 Depth=1
	s_andn2_saveexec_b64 s[4:5], s[4:5]
; %bb.196:                              ;   in Loop: Header=BB0_79 Depth=1
	v_or_b32_e32 v20, 0x10000, v21
	v_cmp_eq_u32_sdwa vcc, v21, v78 src0_sel:WORD_0 src1_sel:DWORD
	v_cndmask_b32_e32 v20, v20, v21, vcc
; %bb.197:                              ;   in Loop: Header=BB0_79 Depth=1
	s_or_b64 exec, exec, s[4:5]
	ds_write_b16_d16_hi v72, v20 offset:32
	v_mov_b32_e32 v20, 0
	v_mov_b32_e32 v88, 0
	s_and_saveexec_b64 s[4:5], s[16:17]
	s_cbranch_execz .LBB0_199
; %bb.198:                              ;   in Loop: Header=BB0_79 Depth=1
	ds_read_b32 v88, v84 offset:8
.LBB0_199:                              ;   in Loop: Header=BB0_79 Depth=1
	s_or_b64 exec, exec, s[4:5]
	s_or_b64 s[4:5], s[64:65], s[18:19]
	s_xor_b64 s[6:7], s[4:5], -1
	s_and_saveexec_b64 s[4:5], s[6:7]
	s_cbranch_execz .LBB0_201
; %bb.200:                              ;   in Loop: Header=BB0_79 Depth=1
	ds_read_b32 v20, v83 offset:8
	s_waitcnt lgkmcnt(0)
	v_mul_f32_e32 v20, v19, v20
.LBB0_201:                              ;   in Loop: Header=BB0_79 Depth=1
	s_or_b64 exec, exec, s[4:5]
	v_and_b32_e32 v19, 0x7f800000, v20
	v_cmp_ne_u32_e32 vcc, s80, v19
                                        ; implicit-def: $vgpr19
	s_and_saveexec_b64 s[4:5], vcc
	s_xor_b64 s[4:5], exec, s[4:5]
; %bb.202:                              ;   in Loop: Header=BB0_79 Depth=1
	v_bfe_u32 v19, v20, 16, 1
	v_add3_u32 v19, v20, v19, s81
                                        ; implicit-def: $vgpr20
; %bb.203:                              ;   in Loop: Header=BB0_79 Depth=1
	s_andn2_saveexec_b64 s[4:5], s[4:5]
; %bb.204:                              ;   in Loop: Header=BB0_79 Depth=1
	v_or_b32_e32 v19, 0x10000, v20
	v_cmp_eq_u32_sdwa vcc, v20, v78 src0_sel:WORD_0 src1_sel:DWORD
	v_cndmask_b32_e32 v19, v19, v20, vcc
; %bb.205:                              ;   in Loop: Header=BB0_79 Depth=1
	s_or_b64 exec, exec, s[4:5]
	ds_write_b16_d16_hi v72, v19 offset:64
	v_mov_b32_e32 v19, 0
	v_mov_b32_e32 v89, 0
	s_and_saveexec_b64 s[4:5], s[20:21]
	s_cbranch_execz .LBB0_207
; %bb.206:                              ;   in Loop: Header=BB0_79 Depth=1
	ds_read_b32 v89, v69
.LBB0_207:                              ;   in Loop: Header=BB0_79 Depth=1
	s_or_b64 exec, exec, s[4:5]
	s_or_b64 s[4:5], s[64:65], s[22:23]
	s_xor_b64 s[6:7], s[4:5], -1
	s_and_saveexec_b64 s[4:5], s[6:7]
	s_cbranch_execz .LBB0_209
; %bb.208:                              ;   in Loop: Header=BB0_79 Depth=1
	ds_read_b32 v19, v68
	s_waitcnt lgkmcnt(0)
	v_mul_f32_e32 v19, v18, v19
.LBB0_209:                              ;   in Loop: Header=BB0_79 Depth=1
	s_or_b64 exec, exec, s[4:5]
	s_and_saveexec_b64 s[4:5], s[24:25]
	s_cbranch_execz .LBB0_215
; %bb.210:                              ;   in Loop: Header=BB0_79 Depth=1
	v_and_b32_e32 v18, 0x7f800000, v19
	v_cmp_ne_u32_e32 vcc, s80, v18
                                        ; implicit-def: $vgpr18
	s_and_saveexec_b64 s[6:7], vcc
	s_xor_b64 s[6:7], exec, s[6:7]
; %bb.211:                              ;   in Loop: Header=BB0_79 Depth=1
	v_bfe_u32 v18, v19, 16, 1
	v_add3_u32 v18, v19, v18, s81
                                        ; implicit-def: $vgpr19
; %bb.212:                              ;   in Loop: Header=BB0_79 Depth=1
	s_andn2_saveexec_b64 s[6:7], s[6:7]
; %bb.213:                              ;   in Loop: Header=BB0_79 Depth=1
	v_or_b32_e32 v18, 0x10000, v19
	v_cmp_eq_u32_sdwa vcc, v19, v78 src0_sel:WORD_0 src1_sel:DWORD
	v_cndmask_b32_e32 v18, v18, v19, vcc
; %bb.214:                              ;   in Loop: Header=BB0_79 Depth=1
	s_or_b64 exec, exec, s[6:7]
	ds_write_b16_d16_hi v73, v18
.LBB0_215:                              ;   in Loop: Header=BB0_79 Depth=1
	s_or_b64 exec, exec, s[4:5]
	s_mov_b32 s49, s48
	v_pk_mov_b32 v[18:19], s[48:49], s[48:49] op_sel:[0,1]
	s_waitcnt lgkmcnt(0)
	s_barrier
	s_and_saveexec_b64 s[4:5], s[2:3]
	s_cbranch_execz .LBB0_225
; %bb.216:                              ;   in Loop: Header=BB0_79 Depth=1
	v_cmp_gt_i32_e32 vcc, s86, v39
	v_pk_mov_b32 v[18:19], s[48:49], s[48:49] op_sel:[0,1]
	s_and_saveexec_b64 s[6:7], vcc
	s_cbranch_execz .LBB0_220
; %bb.217:                              ;   in Loop: Header=BB0_79 Depth=1
	ds_read_u16 v18, v74
	s_waitcnt lgkmcnt(0)
	v_and_b32_e32 v30, 0xffff, v18
	v_pk_mov_b32 v[18:19], v[30:31], v[30:31] op_sel:[0,1]
	s_or_b64 exec, exec, s[6:7]
	v_cmp_gt_i32_e32 vcc, s87, v44
	s_and_saveexec_b64 s[6:7], vcc
	s_cbranch_execnz .LBB0_221
.LBB0_218:                              ;   in Loop: Header=BB0_79 Depth=1
	s_or_b64 exec, exec, s[6:7]
	v_cmp_gt_i32_e32 vcc, s87, v43
	s_and_saveexec_b64 s[6:7], vcc
	s_cbranch_execz .LBB0_222
.LBB0_219:                              ;   in Loop: Header=BB0_79 Depth=1
	ds_read_u16 v20, v74 offset:4
	s_waitcnt lgkmcnt(0)
	v_bfi_b32 v19, s82, v20, v19
	s_or_b64 exec, exec, s[6:7]
	v_cmp_gt_i32_e32 vcc, s87, v42
	s_and_saveexec_b64 s[6:7], vcc
	s_cbranch_execnz .LBB0_223
	s_branch .LBB0_224
.LBB0_220:                              ;   in Loop: Header=BB0_79 Depth=1
	s_or_b64 exec, exec, s[6:7]
	v_cmp_gt_i32_e32 vcc, s87, v44
	s_and_saveexec_b64 s[6:7], vcc
	s_cbranch_execz .LBB0_218
.LBB0_221:                              ;   in Loop: Header=BB0_79 Depth=1
	ds_read_u16 v20, v74 offset:2
	s_waitcnt lgkmcnt(0)
	v_perm_b32 v18, v20, v18, s78
	s_or_b64 exec, exec, s[6:7]
	v_cmp_gt_i32_e32 vcc, s87, v43
	s_and_saveexec_b64 s[6:7], vcc
	s_cbranch_execnz .LBB0_219
.LBB0_222:                              ;   in Loop: Header=BB0_79 Depth=1
	s_or_b64 exec, exec, s[6:7]
	v_cmp_gt_i32_e32 vcc, s87, v42
	s_and_saveexec_b64 s[6:7], vcc
	s_cbranch_execz .LBB0_224
.LBB0_223:                              ;   in Loop: Header=BB0_79 Depth=1
	ds_read_u16 v20, v75
	s_waitcnt lgkmcnt(0)
	v_perm_b32 v19, v20, v19, s78
.LBB0_224:                              ;   in Loop: Header=BB0_79 Depth=1
	s_or_b64 exec, exec, s[6:7]
.LBB0_225:                              ;   in Loop: Header=BB0_79 Depth=1
	s_or_b64 exec, exec, s[4:5]
	s_mov_b32 s49, s48
	v_cmp_gt_i32_e32 vcc, s86, v39
	v_pk_mov_b32 v[20:21], s[48:49], s[48:49] op_sel:[0,1]
	s_and_saveexec_b64 s[4:5], vcc
	s_cbranch_execz .LBB0_229
; %bb.226:                              ;   in Loop: Header=BB0_79 Depth=1
	ds_read_u16 v20, v47
	s_waitcnt lgkmcnt(0)
	v_and_b32_e32 v30, 0xffff, v20
	v_pk_mov_b32 v[20:21], v[30:31], v[30:31] op_sel:[0,1]
	s_or_b64 exec, exec, s[4:5]
	v_cmp_gt_i32_e64 s[4:5], s87, v44
	s_and_saveexec_b64 s[6:7], s[4:5]
	s_cbranch_execnz .LBB0_230
.LBB0_227:                              ;   in Loop: Header=BB0_79 Depth=1
	s_or_b64 exec, exec, s[6:7]
	v_cmp_gt_i32_e64 s[6:7], s87, v43
	s_and_saveexec_b64 s[26:27], s[6:7]
	s_cbranch_execz .LBB0_231
.LBB0_228:                              ;   in Loop: Header=BB0_79 Depth=1
	ds_read_u16 v30, v47 offset:4
	s_waitcnt lgkmcnt(0)
	v_bfi_b32 v21, s82, v30, v21
	s_or_b64 exec, exec, s[26:27]
	v_cmp_gt_i32_e64 s[26:27], s87, v42
	s_and_saveexec_b64 s[34:35], s[26:27]
	s_cbranch_execnz .LBB0_232
	s_branch .LBB0_233
.LBB0_229:                              ;   in Loop: Header=BB0_79 Depth=1
	s_or_b64 exec, exec, s[4:5]
	v_cmp_gt_i32_e64 s[4:5], s87, v44
	s_and_saveexec_b64 s[6:7], s[4:5]
	s_cbranch_execz .LBB0_227
.LBB0_230:                              ;   in Loop: Header=BB0_79 Depth=1
	ds_read_u16 v30, v47 offset:2
	s_waitcnt lgkmcnt(0)
	v_perm_b32 v20, v30, v20, s78
	s_or_b64 exec, exec, s[6:7]
	v_cmp_gt_i32_e64 s[6:7], s87, v43
	s_and_saveexec_b64 s[26:27], s[6:7]
	s_cbranch_execnz .LBB0_228
.LBB0_231:                              ;   in Loop: Header=BB0_79 Depth=1
	s_or_b64 exec, exec, s[26:27]
	v_cmp_gt_i32_e64 s[26:27], s87, v42
	s_and_saveexec_b64 s[34:35], s[26:27]
	s_cbranch_execz .LBB0_233
.LBB0_232:                              ;   in Loop: Header=BB0_79 Depth=1
	ds_read_u16 v30, v48
	s_waitcnt lgkmcnt(0)
	v_perm_b32 v21, v30, v21, s78
.LBB0_233:                              ;   in Loop: Header=BB0_79 Depth=1
	s_or_b64 exec, exec, s[34:35]
	s_mov_b32 s49, s48
	v_pk_mov_b32 v[32:33], s[48:49], s[48:49] op_sel:[0,1]
	s_and_saveexec_b64 s[34:35], vcc
	s_cbranch_execz .LBB0_237
; %bb.234:                              ;   in Loop: Header=BB0_79 Depth=1
	ds_read_u16 v30, v47 offset:512
	s_waitcnt lgkmcnt(0)
	v_and_b32_e32 v30, 0xffff, v30
	v_pk_mov_b32 v[32:33], v[30:31], v[30:31] op_sel:[0,1]
	s_or_b64 exec, exec, s[34:35]
	s_and_saveexec_b64 s[34:35], s[4:5]
	s_cbranch_execnz .LBB0_238
.LBB0_235:                              ;   in Loop: Header=BB0_79 Depth=1
	s_or_b64 exec, exec, s[34:35]
	s_and_saveexec_b64 s[34:35], s[6:7]
	s_cbranch_execz .LBB0_239
.LBB0_236:                              ;   in Loop: Header=BB0_79 Depth=1
	ds_read_u16 v30, v47 offset:516
	s_waitcnt lgkmcnt(0)
	v_bfi_b32 v33, s82, v30, v33
	s_or_b64 exec, exec, s[34:35]
	s_and_saveexec_b64 s[34:35], s[26:27]
	s_cbranch_execnz .LBB0_240
	s_branch .LBB0_241
.LBB0_237:                              ;   in Loop: Header=BB0_79 Depth=1
	s_or_b64 exec, exec, s[34:35]
	s_and_saveexec_b64 s[34:35], s[4:5]
	s_cbranch_execz .LBB0_235
.LBB0_238:                              ;   in Loop: Header=BB0_79 Depth=1
	ds_read_u16 v30, v47 offset:514
	s_waitcnt lgkmcnt(0)
	v_perm_b32 v32, v30, v32, s78
	s_or_b64 exec, exec, s[34:35]
	s_and_saveexec_b64 s[34:35], s[6:7]
	s_cbranch_execnz .LBB0_236
.LBB0_239:                              ;   in Loop: Header=BB0_79 Depth=1
	s_or_b64 exec, exec, s[34:35]
	s_and_saveexec_b64 s[34:35], s[26:27]
	s_cbranch_execz .LBB0_241
.LBB0_240:                              ;   in Loop: Header=BB0_79 Depth=1
	ds_read_u16 v30, v48 offset:512
	s_waitcnt lgkmcnt(0)
	v_perm_b32 v33, v30, v33, s78
.LBB0_241:                              ;   in Loop: Header=BB0_79 Depth=1
	s_or_b64 exec, exec, s[34:35]
	s_mov_b32 s49, s48
	v_pk_mov_b32 v[34:35], s[48:49], s[48:49] op_sel:[0,1]
	s_and_saveexec_b64 s[34:35], vcc
	s_cbranch_execz .LBB0_245
; %bb.242:                              ;   in Loop: Header=BB0_79 Depth=1
	ds_read_u16 v30, v47 offset:1024
	s_waitcnt lgkmcnt(0)
	v_and_b32_e32 v30, 0xffff, v30
	v_pk_mov_b32 v[34:35], v[30:31], v[30:31] op_sel:[0,1]
	s_or_b64 exec, exec, s[34:35]
	s_and_saveexec_b64 s[34:35], s[4:5]
	s_cbranch_execnz .LBB0_246
.LBB0_243:                              ;   in Loop: Header=BB0_79 Depth=1
	s_or_b64 exec, exec, s[34:35]
	s_and_saveexec_b64 s[34:35], s[6:7]
	s_cbranch_execz .LBB0_247
.LBB0_244:                              ;   in Loop: Header=BB0_79 Depth=1
	ds_read_u16 v30, v47 offset:1028
	s_waitcnt lgkmcnt(0)
	v_bfi_b32 v35, s82, v30, v35
	s_or_b64 exec, exec, s[34:35]
	s_and_saveexec_b64 s[34:35], s[26:27]
	s_cbranch_execnz .LBB0_248
	s_branch .LBB0_249
.LBB0_245:                              ;   in Loop: Header=BB0_79 Depth=1
	s_or_b64 exec, exec, s[34:35]
	s_and_saveexec_b64 s[34:35], s[4:5]
	s_cbranch_execz .LBB0_243
.LBB0_246:                              ;   in Loop: Header=BB0_79 Depth=1
	ds_read_u16 v30, v47 offset:1026
	s_waitcnt lgkmcnt(0)
	v_perm_b32 v34, v30, v34, s78
	s_or_b64 exec, exec, s[34:35]
	s_and_saveexec_b64 s[34:35], s[6:7]
	s_cbranch_execnz .LBB0_244
.LBB0_247:                              ;   in Loop: Header=BB0_79 Depth=1
	s_or_b64 exec, exec, s[34:35]
	s_and_saveexec_b64 s[34:35], s[26:27]
	s_cbranch_execz .LBB0_249
.LBB0_248:                              ;   in Loop: Header=BB0_79 Depth=1
	ds_read_u16 v30, v48 offset:1024
	s_waitcnt lgkmcnt(0)
	v_perm_b32 v35, v30, v35, s78
.LBB0_249:                              ;   in Loop: Header=BB0_79 Depth=1
	s_or_b64 exec, exec, s[34:35]
	s_mov_b32 s49, s48
	v_pk_mov_b32 v[36:37], s[48:49], s[48:49] op_sel:[0,1]
	s_and_saveexec_b64 s[34:35], vcc
	s_cbranch_execz .LBB0_253
; %bb.250:                              ;   in Loop: Header=BB0_79 Depth=1
	ds_read_u16 v30, v49
	s_waitcnt lgkmcnt(0)
	v_and_b32_e32 v30, 0xffff, v30
	v_pk_mov_b32 v[36:37], v[30:31], v[30:31] op_sel:[0,1]
	s_or_b64 exec, exec, s[34:35]
	s_and_saveexec_b64 s[34:35], s[4:5]
	s_cbranch_execnz .LBB0_254
.LBB0_251:                              ;   in Loop: Header=BB0_79 Depth=1
	s_or_b64 exec, exec, s[34:35]
	s_and_saveexec_b64 s[4:5], s[6:7]
	s_cbranch_execz .LBB0_255
.LBB0_252:                              ;   in Loop: Header=BB0_79 Depth=1
	ds_read_u16 v30, v49 offset:4
	s_waitcnt lgkmcnt(0)
	v_bfi_b32 v37, s82, v30, v37
	s_or_b64 exec, exec, s[4:5]
	s_and_saveexec_b64 s[4:5], s[26:27]
	s_cbranch_execz .LBB0_78
	s_branch .LBB0_256
.LBB0_253:                              ;   in Loop: Header=BB0_79 Depth=1
	s_or_b64 exec, exec, s[34:35]
	s_and_saveexec_b64 s[34:35], s[4:5]
	s_cbranch_execz .LBB0_251
.LBB0_254:                              ;   in Loop: Header=BB0_79 Depth=1
	ds_read_u16 v30, v49 offset:2
	s_waitcnt lgkmcnt(0)
	v_perm_b32 v36, v30, v36, s78
	s_or_b64 exec, exec, s[34:35]
	s_and_saveexec_b64 s[4:5], s[6:7]
	s_cbranch_execnz .LBB0_252
.LBB0_255:                              ;   in Loop: Header=BB0_79 Depth=1
	s_or_b64 exec, exec, s[4:5]
	s_and_saveexec_b64 s[4:5], s[26:27]
	s_cbranch_execz .LBB0_78
.LBB0_256:                              ;   in Loop: Header=BB0_79 Depth=1
	ds_read_u16 v30, v50
	s_waitcnt lgkmcnt(0)
	v_perm_b32 v37, v30, v37, s78
	s_branch .LBB0_78
.LBB0_257:
	s_cmp_lg_u64 s[46:47], 0
	s_cbranch_scc0 .LBB0_299
; %bb.258:
	v_cmp_eq_u32_e32 vcc, 0, v38
	s_and_saveexec_b64 s[0:1], vcc
	s_cbranch_execz .LBB0_296
; %bb.259:
	v_cmp_le_u32_e32 vcc, s53, v39
	s_and_saveexec_b64 s[2:3], vcc
	s_xor_b64 s[2:3], exec, s[2:3]
	s_cbranch_execz .LBB0_261
; %bb.260:
	v_mov_b32_e32 v1, 1.0
	ds_write_b32 v41, v1 offset:4928
.LBB0_261:
	s_andn2_saveexec_b64 s[2:3], s[2:3]
	s_cbranch_execz .LBB0_267
; %bb.262:
	v_add_u32_e32 v18, s33, v39
	v_ashrrev_i32_e32 v19, 31, v18
	v_lshlrev_b64 v[18:19], 1, v[18:19]
	v_mov_b32_e32 v1, s47
	v_add_co_u32_e32 v18, vcc, s46, v18
	v_addc_co_u32_e32 v19, vcc, v1, v19, vcc
	global_load_ushort v1, v[18:19], off
	s_movk_i32 s4, 0x1f8
	s_waitcnt vmcnt(0)
	v_lshlrev_b32_e32 v1, 16, v1
	v_cmp_class_f32_e64 s[4:5], v1, s4
	s_and_saveexec_b64 s[6:7], s[4:5]
	s_xor_b64 s[4:5], exec, s[6:7]
	s_cbranch_execz .LBB0_264
; %bb.263:
	v_add_u32_e32 v20, 0x1000, v41
	ds_read2_b32 v[18:19], v20 offset0:144 offset1:160
	v_max_f32_e32 v21, v1, v1
	s_mov_b32 s6, 0xff800000
	s_waitcnt lgkmcnt(0)
	v_max_f32_e32 v22, v19, v19
	v_max_f32_e32 v21, v22, v21
	v_sub_f32_e32 v22, v19, v21
	v_sub_f32_e32 v1, v1, v21
	v_mul_f32_e32 v22, 0x3fb8aa3b, v22
	v_exp_f32_e32 v22, v22
	v_mul_f32_e32 v1, 0x3fb8aa3b, v1
	v_exp_f32_e32 v1, v1
	v_cmp_neq_f32_e32 vcc, s6, v19
	v_cndmask_b32_e32 v19, 0, v22, vcc
	v_mul_f32_e32 v22, v18, v19
	v_fmac_f32_e32 v1, v18, v19
	v_div_scale_f32 v18, s[6:7], v1, v1, v22
	v_rcp_f32_e32 v19, v18
	v_div_scale_f32 v23, vcc, v22, v1, v22
	v_fma_f32 v24, -v18, v19, 1.0
	v_fmac_f32_e32 v19, v24, v19
	v_mul_f32_e32 v24, v23, v19
	v_fma_f32 v25, -v18, v24, v23
	v_fmac_f32_e32 v24, v25, v19
	v_fma_f32 v18, -v18, v24, v23
	v_div_fmas_f32 v18, v18, v19, v24
	v_div_fixup_f32 v18, v18, v1, v22
	v_cmp_lt_f32_e32 vcc, 0, v1
	v_cndmask_b32_e32 v18, 1.0, v18, vcc
	ds_write_b32 v41, v18 offset:4928
	ds_write2_b32 v20, v1, v21 offset0:144 offset1:160
.LBB0_264:
	s_andn2_saveexec_b64 s[4:5], s[4:5]
	s_cbranch_execz .LBB0_266
; %bb.265:
	v_mov_b32_e32 v1, 1.0
	ds_write_b32 v41, v1 offset:4928
.LBB0_266:
	s_or_b64 exec, exec, s[4:5]
.LBB0_267:
	s_or_b64 exec, exec, s[2:3]
	v_or_b32_e32 v1, 1, v40
	v_cmp_le_u32_e32 vcc, s70, v1
	s_and_saveexec_b64 s[2:3], vcc
	s_xor_b64 s[2:3], exec, s[2:3]
	s_cbranch_execz .LBB0_271
; %bb.268:
	v_cmp_gt_u32_e32 vcc, 64, v0
	s_and_saveexec_b64 s[4:5], vcc
	s_cbranch_execz .LBB0_270
; %bb.269:
	v_lshlrev_b32_e32 v1, 2, v40
	v_mov_b32_e32 v18, 1.0
	ds_write_b32 v1, v18 offset:4932
.LBB0_270:
	s_or_b64 exec, exec, s[4:5]
.LBB0_271:
	s_andn2_saveexec_b64 s[2:3], s[2:3]
	s_cbranch_execz .LBB0_277
; %bb.272:
	s_ashr_i32 s4, s33, 31
	v_mov_b32_e32 v1, s4
	v_add_co_u32_e32 v18, vcc, s33, v40
	v_addc_co_u32_e32 v19, vcc, 0, v1, vcc
	v_lshlrev_b64 v[18:19], 1, v[18:19]
	v_mov_b32_e32 v1, s47
	v_add_co_u32_e32 v18, vcc, s46, v18
	v_addc_co_u32_e32 v19, vcc, v1, v19, vcc
	global_load_ushort v1, v[18:19], off offset:2
	s_movk_i32 s4, 0x1f8
	s_waitcnt vmcnt(0)
	v_lshlrev_b32_e32 v1, 16, v1
	v_cmp_class_f32_e64 s[4:5], v1, s4
	s_and_saveexec_b64 s[6:7], s[4:5]
	s_xor_b64 s[4:5], exec, s[6:7]
	s_cbranch_execz .LBB0_274
; %bb.273:
	v_lshlrev_b32_e32 v20, 2, v40
	v_add_u32_e32 v21, 0x1000, v20
	ds_read2_b32 v[18:19], v21 offset0:145 offset1:161
	v_max_f32_e32 v22, v1, v1
	s_mov_b32 s6, 0xff800000
	s_waitcnt lgkmcnt(0)
	v_max_f32_e32 v23, v19, v19
	v_max_f32_e32 v22, v23, v22
	v_sub_f32_e32 v23, v19, v22
	v_sub_f32_e32 v1, v1, v22
	v_mul_f32_e32 v23, 0x3fb8aa3b, v23
	v_exp_f32_e32 v23, v23
	v_mul_f32_e32 v1, 0x3fb8aa3b, v1
	v_exp_f32_e32 v1, v1
	v_cmp_neq_f32_e32 vcc, s6, v19
	v_cndmask_b32_e32 v19, 0, v23, vcc
	v_mul_f32_e32 v23, v18, v19
	v_fmac_f32_e32 v1, v18, v19
	v_div_scale_f32 v18, s[6:7], v1, v1, v23
	v_rcp_f32_e32 v19, v18
	v_div_scale_f32 v24, vcc, v23, v1, v23
	v_fma_f32 v25, -v18, v19, 1.0
	v_fmac_f32_e32 v19, v25, v19
	v_mul_f32_e32 v25, v24, v19
	v_fma_f32 v26, -v18, v25, v24
	v_fmac_f32_e32 v25, v26, v19
	v_fma_f32 v18, -v18, v25, v24
	v_div_fmas_f32 v18, v18, v19, v25
	v_div_fixup_f32 v18, v18, v1, v23
	v_cmp_lt_f32_e32 vcc, 0, v1
	v_cndmask_b32_e32 v18, 1.0, v18, vcc
	ds_write_b32 v20, v18 offset:4932
	ds_write2_b32 v21, v1, v22 offset0:145 offset1:161
.LBB0_274:
	s_andn2_saveexec_b64 s[4:5], s[4:5]
	s_cbranch_execz .LBB0_276
; %bb.275:
	v_lshlrev_b32_e32 v1, 2, v40
	v_mov_b32_e32 v18, 1.0
	ds_write_b32 v1, v18 offset:4932
.LBB0_276:
	s_or_b64 exec, exec, s[4:5]
.LBB0_277:
	s_or_b64 exec, exec, s[2:3]
	v_or_b32_e32 v1, 2, v40
	v_cmp_le_u32_e32 vcc, s70, v1
	s_and_saveexec_b64 s[2:3], vcc
	s_xor_b64 s[2:3], exec, s[2:3]
	s_cbranch_execz .LBB0_281
; %bb.278:
	v_cmp_gt_u32_e32 vcc, 64, v0
	s_and_saveexec_b64 s[4:5], vcc
	s_cbranch_execz .LBB0_280
; %bb.279:
	v_lshlrev_b32_e32 v1, 2, v40
	v_mov_b32_e32 v18, 1.0
	ds_write_b32 v1, v18 offset:4936
.LBB0_280:
	s_or_b64 exec, exec, s[4:5]
.LBB0_281:
	s_andn2_saveexec_b64 s[2:3], s[2:3]
	s_cbranch_execz .LBB0_287
; %bb.282:
	s_ashr_i32 s4, s33, 31
	v_mov_b32_e32 v1, s4
	v_add_co_u32_e32 v18, vcc, s33, v40
	v_addc_co_u32_e32 v19, vcc, 0, v1, vcc
	v_lshlrev_b64 v[18:19], 1, v[18:19]
	v_mov_b32_e32 v1, s47
	v_add_co_u32_e32 v18, vcc, s46, v18
	v_addc_co_u32_e32 v19, vcc, v1, v19, vcc
	global_load_ushort v1, v[18:19], off offset:4
	s_movk_i32 s4, 0x1f8
	s_waitcnt vmcnt(0)
	v_lshlrev_b32_e32 v1, 16, v1
	v_cmp_class_f32_e64 s[4:5], v1, s4
	s_and_saveexec_b64 s[6:7], s[4:5]
	s_xor_b64 s[4:5], exec, s[6:7]
	s_cbranch_execz .LBB0_284
; %bb.283:
	v_lshlrev_b32_e32 v20, 2, v40
	v_add_u32_e32 v21, 0x1000, v20
	ds_read2_b32 v[18:19], v21 offset0:146 offset1:162
	v_max_f32_e32 v22, v1, v1
	s_mov_b32 s6, 0xff800000
	s_waitcnt lgkmcnt(0)
	v_max_f32_e32 v23, v19, v19
	v_max_f32_e32 v22, v23, v22
	v_sub_f32_e32 v23, v19, v22
	v_sub_f32_e32 v1, v1, v22
	v_mul_f32_e32 v23, 0x3fb8aa3b, v23
	v_exp_f32_e32 v23, v23
	v_mul_f32_e32 v1, 0x3fb8aa3b, v1
	v_exp_f32_e32 v1, v1
	v_cmp_neq_f32_e32 vcc, s6, v19
	v_cndmask_b32_e32 v19, 0, v23, vcc
	v_mul_f32_e32 v23, v18, v19
	v_fmac_f32_e32 v1, v18, v19
	v_div_scale_f32 v18, s[6:7], v1, v1, v23
	v_rcp_f32_e32 v19, v18
	v_div_scale_f32 v24, vcc, v23, v1, v23
	v_fma_f32 v25, -v18, v19, 1.0
	v_fmac_f32_e32 v19, v25, v19
	v_mul_f32_e32 v25, v24, v19
	v_fma_f32 v26, -v18, v25, v24
	v_fmac_f32_e32 v25, v26, v19
	v_fma_f32 v18, -v18, v25, v24
	v_div_fmas_f32 v18, v18, v19, v25
	v_div_fixup_f32 v18, v18, v1, v23
	v_cmp_lt_f32_e32 vcc, 0, v1
	v_cndmask_b32_e32 v18, 1.0, v18, vcc
	ds_write_b32 v20, v18 offset:4936
	ds_write2_b32 v21, v1, v22 offset0:146 offset1:162
.LBB0_284:
	s_andn2_saveexec_b64 s[4:5], s[4:5]
	s_cbranch_execz .LBB0_286
; %bb.285:
	v_lshlrev_b32_e32 v1, 2, v40
	v_mov_b32_e32 v18, 1.0
	ds_write_b32 v1, v18 offset:4936
.LBB0_286:
	s_or_b64 exec, exec, s[4:5]
.LBB0_287:
	s_or_b64 exec, exec, s[2:3]
	v_cmp_le_u32_e32 vcc, s70, v42
	s_and_saveexec_b64 s[2:3], vcc
	s_xor_b64 s[2:3], exec, s[2:3]
	s_cbranch_execz .LBB0_291
; %bb.288:
	v_cmp_gt_u32_e32 vcc, 64, v0
	s_and_saveexec_b64 s[4:5], vcc
	s_cbranch_execz .LBB0_290
; %bb.289:
	v_lshlrev_b32_e32 v1, 2, v40
	v_mov_b32_e32 v18, 1.0
	ds_write_b32 v1, v18 offset:4940
.LBB0_290:
	s_or_b64 exec, exec, s[4:5]
.LBB0_291:
	s_andn2_saveexec_b64 s[2:3], s[2:3]
	s_cbranch_execz .LBB0_296
; %bb.292:
	s_ashr_i32 s2, s33, 31
	v_mov_b32_e32 v1, s2
	v_add_co_u32_e32 v18, vcc, s33, v40
	v_addc_co_u32_e32 v19, vcc, 0, v1, vcc
	v_lshlrev_b64 v[18:19], 1, v[18:19]
	v_mov_b32_e32 v1, s47
	v_add_co_u32_e32 v18, vcc, s46, v18
	v_addc_co_u32_e32 v19, vcc, v1, v19, vcc
	global_load_ushort v1, v[18:19], off offset:6
	s_movk_i32 s2, 0x1f8
	s_waitcnt vmcnt(0)
	v_lshlrev_b32_e32 v18, 16, v1
	v_cmp_class_f32_e64 s[2:3], v18, s2
	v_lshlrev_b32_e32 v1, 2, v40
	s_and_saveexec_b64 s[4:5], s[2:3]
	s_xor_b64 s[2:3], exec, s[4:5]
	s_cbranch_execz .LBB0_294
; %bb.293:
	v_add_u32_e32 v19, 0x1000, v1
	ds_read2_b32 v[20:21], v19 offset0:147 offset1:163
	v_max_f32_e32 v22, v18, v18
	s_mov_b32 s4, 0xff800000
	s_waitcnt lgkmcnt(0)
	v_max_f32_e32 v23, v21, v21
	v_max_f32_e32 v22, v23, v22
	v_sub_f32_e32 v23, v21, v22
	v_sub_f32_e32 v18, v18, v22
	v_mul_f32_e32 v23, 0x3fb8aa3b, v23
	v_exp_f32_e32 v23, v23
	v_mul_f32_e32 v18, 0x3fb8aa3b, v18
	v_exp_f32_e32 v18, v18
	v_cmp_neq_f32_e32 vcc, s4, v21
	v_cndmask_b32_e32 v21, 0, v23, vcc
	v_mul_f32_e32 v23, v20, v21
	v_fmac_f32_e32 v18, v20, v21
	v_div_scale_f32 v20, s[4:5], v18, v18, v23
	v_rcp_f32_e32 v21, v20
	v_div_scale_f32 v24, vcc, v23, v18, v23
	v_fma_f32 v25, -v20, v21, 1.0
	v_fmac_f32_e32 v21, v25, v21
	v_mul_f32_e32 v25, v24, v21
	v_fma_f32 v26, -v20, v25, v24
	v_fmac_f32_e32 v25, v26, v21
	v_fma_f32 v20, -v20, v25, v24
	v_div_fmas_f32 v20, v20, v21, v25
	v_div_fixup_f32 v20, v20, v18, v23
	v_cmp_lt_f32_e32 vcc, 0, v18
	v_cndmask_b32_e32 v20, 1.0, v20, vcc
	ds_write_b32 v1, v20 offset:4940
	ds_write2_b32 v19, v18, v22 offset0:147 offset1:163
                                        ; implicit-def: $vgpr1
.LBB0_294:
	s_andn2_saveexec_b64 s[2:3], s[2:3]
	s_cbranch_execz .LBB0_296
; %bb.295:
	v_mov_b32_e32 v18, 1.0
	ds_write_b32 v1, v18 offset:4940
.LBB0_296:
	s_or_b64 exec, exec, s[0:1]
	s_waitcnt lgkmcnt(0)
	s_barrier
	ds_read_b96 v[18:20], v41 offset:4928
	v_cmp_gt_u32_e32 vcc, 64, v0
	v_mov_b32_e32 v1, 1.0
	s_and_saveexec_b64 s[0:1], vcc
	s_cbranch_execz .LBB0_298
; %bb.297:
	v_lshl_or_b32 v1, v40, 2, 12
	ds_read_b32 v1, v1 offset:4928
.LBB0_298:
	s_or_b64 exec, exec, s[0:1]
	s_waitcnt lgkmcnt(0)
	v_pk_mul_f32 v[14:15], v[14:15], v[18:19]
	v_pk_mul_f32 v[10:11], v[10:11], v[18:19]
	;; [unrolled: 1-line block ×4, first 2 shown]
	v_mul_f32_e32 v12, v12, v20
	v_mul_f32_e32 v4, v4, v20
	;; [unrolled: 1-line block ×8, first 2 shown]
.LBB0_299:
	s_lshl_b64 s[0:1], s[56:57], 2
	s_add_u32 s2, s54, s0
	v_or_b32_e32 v0, 48, v0
	s_addc_u32 s3, s55, s1
	v_cmp_gt_u32_e32 vcc, s53, v39
	v_lshlrev_b32_e32 v1, 2, v38
	v_lshlrev_b32_e32 v0, 2, v0
	s_and_saveexec_b64 s[0:1], vcc
	s_cbranch_execz .LBB0_303
; %bb.300:
	v_add_u32_e32 v18, s33, v39
	v_ashrrev_i32_e32 v19, 31, v18
	v_lshlrev_b64 v[18:19], 8, v[18:19]
	v_mov_b32_e32 v20, s3
	v_add_co_u32_e32 v21, vcc, s2, v18
	v_addc_co_u32_e32 v20, vcc, v20, v19, vcc
	v_add_co_u32_e32 v18, vcc, v21, v1
	v_addc_co_u32_e32 v19, vcc, 0, v20, vcc
	global_store_dword v[18:19], v10, off
	global_store_dword v[18:19], v2, off offset:64
	global_store_dword v[18:19], v6, off offset:128
	v_add_co_u32_e32 v18, vcc, v21, v0
	v_addc_co_u32_e32 v19, vcc, 0, v20, vcc
	global_store_dword v[18:19], v14, off
	s_or_b64 exec, exec, s[0:1]
	v_cmp_gt_u32_e32 vcc, s70, v44
	s_and_saveexec_b64 s[0:1], vcc
	s_cbranch_execnz .LBB0_304
.LBB0_301:
	s_or_b64 exec, exec, s[0:1]
	v_cmp_gt_u32_e32 vcc, s70, v43
	s_and_saveexec_b64 s[0:1], vcc
	s_cbranch_execz .LBB0_305
.LBB0_302:
	v_add_u32_e32 v2, s33, v43
	v_ashrrev_i32_e32 v3, 31, v2
	v_lshlrev_b64 v[2:3], 8, v[2:3]
	v_mov_b32_e32 v6, s3
	v_add_co_u32_e32 v7, vcc, s2, v2
	v_addc_co_u32_e32 v6, vcc, v6, v3, vcc
	v_add_co_u32_e32 v2, vcc, v7, v1
	v_addc_co_u32_e32 v3, vcc, 0, v6, vcc
	global_store_dword v[2:3], v12, off
	global_store_dword v[2:3], v4, off offset:64
	global_store_dword v[2:3], v8, off offset:128
	v_add_co_u32_e32 v2, vcc, v7, v0
	v_addc_co_u32_e32 v3, vcc, 0, v6, vcc
	global_store_dword v[2:3], v16, off
	s_or_b64 exec, exec, s[0:1]
	v_cmp_gt_u32_e32 vcc, s70, v42
	s_and_b64 exec, exec, vcc
	s_cbranch_execnz .LBB0_306
	s_branch .LBB0_307
.LBB0_303:
	s_or_b64 exec, exec, s[0:1]
	v_cmp_gt_u32_e32 vcc, s70, v44
	s_and_saveexec_b64 s[0:1], vcc
	s_cbranch_execz .LBB0_301
.LBB0_304:
	v_add_u32_e32 v18, s33, v44
	v_ashrrev_i32_e32 v19, 31, v18
	v_lshlrev_b64 v[18:19], 8, v[18:19]
	v_mov_b32_e32 v2, s3
	v_add_co_u32_e32 v6, vcc, s2, v18
	v_addc_co_u32_e32 v10, vcc, v2, v19, vcc
	v_add_co_u32_e32 v18, vcc, v6, v1
	v_addc_co_u32_e32 v19, vcc, 0, v10, vcc
	v_add_co_u32_e32 v2, vcc, v6, v0
	global_store_dword v[18:19], v11, off
	global_store_dword v[18:19], v3, off offset:64
	global_store_dword v[18:19], v7, off offset:128
	v_addc_co_u32_e32 v3, vcc, 0, v10, vcc
	global_store_dword v[2:3], v15, off
	s_or_b64 exec, exec, s[0:1]
	v_cmp_gt_u32_e32 vcc, s70, v43
	s_and_saveexec_b64 s[0:1], vcc
	s_cbranch_execnz .LBB0_302
.LBB0_305:
	s_or_b64 exec, exec, s[0:1]
	v_cmp_gt_u32_e32 vcc, s70, v42
	s_and_b64 exec, exec, vcc
	s_cbranch_execz .LBB0_307
.LBB0_306:
	v_add_u32_e32 v2, s33, v42
	v_ashrrev_i32_e32 v3, 31, v2
	v_lshlrev_b64 v[2:3], 8, v[2:3]
	v_mov_b32_e32 v4, s3
	v_add_co_u32_e32 v6, vcc, s2, v2
	v_addc_co_u32_e32 v4, vcc, v4, v3, vcc
	v_add_co_u32_e32 v2, vcc, v6, v1
	v_addc_co_u32_e32 v3, vcc, 0, v4, vcc
	;; [unrolled: 2-line block ×3, first 2 shown]
	global_store_dword v[2:3], v13, off
	global_store_dword v[2:3], v5, off offset:64
	global_store_dword v[2:3], v9, off offset:128
	global_store_dword v[0:1], v17, off
.LBB0_307:
	s_endpgm
	.section	.rodata,"a",@progbits
	.p2align	6, 0x0
	.amdhsa_kernel _Z22fa2_decode_mfma_head64I14__hip_bfloat16Lb1ELi16ELi16EEvPKfPKvS4_S2_PKS0_PfiiiiiiiiPKiS9_xPKxS9_S9_i
		.amdhsa_group_segment_fixed_size 4992
		.amdhsa_private_segment_fixed_size 0
		.amdhsa_kernarg_size 132
		.amdhsa_user_sgpr_count 6
		.amdhsa_user_sgpr_private_segment_buffer 1
		.amdhsa_user_sgpr_dispatch_ptr 0
		.amdhsa_user_sgpr_queue_ptr 0
		.amdhsa_user_sgpr_kernarg_segment_ptr 1
		.amdhsa_user_sgpr_dispatch_id 0
		.amdhsa_user_sgpr_flat_scratch_init 0
		.amdhsa_user_sgpr_kernarg_preload_length 0
		.amdhsa_user_sgpr_kernarg_preload_offset 0
		.amdhsa_user_sgpr_private_segment_size 0
		.amdhsa_uses_dynamic_stack 0
		.amdhsa_system_sgpr_private_segment_wavefront_offset 0
		.amdhsa_system_sgpr_workgroup_id_x 1
		.amdhsa_system_sgpr_workgroup_id_y 1
		.amdhsa_system_sgpr_workgroup_id_z 0
		.amdhsa_system_sgpr_workgroup_info 0
		.amdhsa_system_vgpr_workitem_id 0
		.amdhsa_next_free_vgpr 99
		.amdhsa_next_free_sgpr 91
		.amdhsa_accum_offset 100
		.amdhsa_reserve_vcc 1
		.amdhsa_reserve_flat_scratch 0
		.amdhsa_float_round_mode_32 0
		.amdhsa_float_round_mode_16_64 0
		.amdhsa_float_denorm_mode_32 3
		.amdhsa_float_denorm_mode_16_64 3
		.amdhsa_dx10_clamp 1
		.amdhsa_ieee_mode 1
		.amdhsa_fp16_overflow 0
		.amdhsa_tg_split 0
		.amdhsa_exception_fp_ieee_invalid_op 0
		.amdhsa_exception_fp_denorm_src 0
		.amdhsa_exception_fp_ieee_div_zero 0
		.amdhsa_exception_fp_ieee_overflow 0
		.amdhsa_exception_fp_ieee_underflow 0
		.amdhsa_exception_fp_ieee_inexact 0
		.amdhsa_exception_int_div_zero 0
	.end_amdhsa_kernel
	.section	.text._Z22fa2_decode_mfma_head64I14__hip_bfloat16Lb1ELi16ELi16EEvPKfPKvS4_S2_PKS0_PfiiiiiiiiPKiS9_xPKxS9_S9_i,"axG",@progbits,_Z22fa2_decode_mfma_head64I14__hip_bfloat16Lb1ELi16ELi16EEvPKfPKvS4_S2_PKS0_PfiiiiiiiiPKiS9_xPKxS9_S9_i,comdat
.Lfunc_end0:
	.size	_Z22fa2_decode_mfma_head64I14__hip_bfloat16Lb1ELi16ELi16EEvPKfPKvS4_S2_PKS0_PfiiiiiiiiPKiS9_xPKxS9_S9_i, .Lfunc_end0-_Z22fa2_decode_mfma_head64I14__hip_bfloat16Lb1ELi16ELi16EEvPKfPKvS4_S2_PKS0_PfiiiiiiiiPKiS9_xPKxS9_S9_i
                                        ; -- End function
	.section	.AMDGPU.csdata,"",@progbits
; Kernel info:
; codeLenInByte = 11556
; NumSgprs: 95
; NumVgprs: 99
; NumAgprs: 0
; TotalNumVgprs: 99
; ScratchSize: 0
; MemoryBound: 0
; FloatMode: 240
; IeeeMode: 1
; LDSByteSize: 4992 bytes/workgroup (compile time only)
; SGPRBlocks: 11
; VGPRBlocks: 12
; NumSGPRsForWavesPerEU: 95
; NumVGPRsForWavesPerEU: 99
; AccumOffset: 100
; Occupancy: 4
; WaveLimiterHint : 1
; COMPUTE_PGM_RSRC2:SCRATCH_EN: 0
; COMPUTE_PGM_RSRC2:USER_SGPR: 6
; COMPUTE_PGM_RSRC2:TRAP_HANDLER: 0
; COMPUTE_PGM_RSRC2:TGID_X_EN: 1
; COMPUTE_PGM_RSRC2:TGID_Y_EN: 1
; COMPUTE_PGM_RSRC2:TGID_Z_EN: 0
; COMPUTE_PGM_RSRC2:TIDIG_COMP_CNT: 0
; COMPUTE_PGM_RSRC3_GFX90A:ACCUM_OFFSET: 24
; COMPUTE_PGM_RSRC3_GFX90A:TG_SPLIT: 0
	.section	.text._Z22fa2_decode_mfma_head64I14__hip_bfloat16Lb0ELi16ELi16EEvPKfPKvS4_S2_PKS0_PfiiiiiiiiPKiS9_xPKxS9_S9_i,"axG",@progbits,_Z22fa2_decode_mfma_head64I14__hip_bfloat16Lb0ELi16ELi16EEvPKfPKvS4_S2_PKS0_PfiiiiiiiiPKiS9_xPKxS9_S9_i,comdat
	.protected	_Z22fa2_decode_mfma_head64I14__hip_bfloat16Lb0ELi16ELi16EEvPKfPKvS4_S2_PKS0_PfiiiiiiiiPKiS9_xPKxS9_S9_i ; -- Begin function _Z22fa2_decode_mfma_head64I14__hip_bfloat16Lb0ELi16ELi16EEvPKfPKvS4_S2_PKS0_PfiiiiiiiiPKiS9_xPKxS9_S9_i
	.globl	_Z22fa2_decode_mfma_head64I14__hip_bfloat16Lb0ELi16ELi16EEvPKfPKvS4_S2_PKS0_PfiiiiiiiiPKiS9_xPKxS9_S9_i
	.p2align	8
	.type	_Z22fa2_decode_mfma_head64I14__hip_bfloat16Lb0ELi16ELi16EEvPKfPKvS4_S2_PKS0_PfiiiiiiiiPKiS9_xPKxS9_S9_i,@function
_Z22fa2_decode_mfma_head64I14__hip_bfloat16Lb0ELi16ELi16EEvPKfPKvS4_S2_PKS0_PfiiiiiiiiPKiS9_xPKxS9_S9_i: ; @_Z22fa2_decode_mfma_head64I14__hip_bfloat16Lb0ELi16ELi16EEvPKfPKvS4_S2_PKS0_PfiiiiiiiiPKiS9_xPKxS9_S9_i
; %bb.0:
	s_load_dword s0, s[4:5], 0x30
	s_load_dwordx2 s[38:39], s[4:5], 0x3c
	v_cmp_gt_u32_e32 vcc, 64, v0
	s_waitcnt lgkmcnt(0)
	s_cmp_lt_i32 s7, s0
	s_cselect_b64 s[0:1], -1, 0
	s_and_b64 s[0:1], vcc, s[0:1]
	s_cmp_gt_i32 s39, 0
	s_cselect_b64 s[8:9], -1, 0
	s_and_b64 s[0:1], s[0:1], s[8:9]
	s_and_saveexec_b64 s[8:9], s[0:1]
	s_cbranch_execz .LBB1_283
; %bb.1:
	s_load_dwordx2 s[16:17], s[4:5], 0x48
	s_mul_i32 s33, s6, s39
	s_waitcnt lgkmcnt(0)
	s_cmp_ge_i32 s33, s17
	s_cbranch_scc1 .LBB1_283
; %bb.2:
	s_mov_b32 s2, s7
	s_load_dwordx4 s[8:11], s[4:5], 0x50
	s_load_dwordx2 s[0:1], s[4:5], 0x78
	s_load_dwordx4 s[24:27], s[4:5], 0x68
	s_load_dwordx2 s[18:19], s[4:5], 0x0
	s_ashr_i32 s3, s7, 31
	s_lshl_b64 s[12:13], s[2:3], 2
	s_waitcnt lgkmcnt(0)
	s_add_u32 s14, s8, s12
	s_addc_u32 s15, s9, s13
	s_ashr_i32 s9, s16, 31
	s_mov_b32 s8, s16
	s_lshl_b64 s[28:29], s[8:9], 2
	s_add_u32 s20, s0, s28
	s_addc_u32 s21, s1, s29
	s_lshl_b64 s[0:1], s[8:9], 3
	s_add_u32 s22, s24, s0
	s_addc_u32 s23, s25, s1
	s_add_u32 s24, s26, s28
	s_addc_u32 s25, s27, s29
	;; [unrolled: 2-line block ×3, first 2 shown]
	v_cmp_gt_u32_e64 s[0:1], 16, v0
	s_and_saveexec_b64 s[8:9], s[0:1]
	s_cbranch_execz .LBB1_4
; %bb.3:
	v_lshlrev_b32_e32 v1, 2, v0
	v_mov_b32_e32 v2, 0xff800000
	v_mov_b32_e32 v3, 0
	v_add_u32_e32 v1, 0x1000, v1
	ds_write2_b32 v1, v3, v2 offset0:144 offset1:160
.LBB1_4:
	s_or_b64 exec, exec, s[8:9]
	s_load_dwordx4 s[8:11], s[4:5], 0x8
	s_load_dwordx4 s[40:43], s[4:5], 0x20
	s_load_dwordx2 s[12:13], s[22:23], 0x0
	s_load_dword s60, s[14:15], 0x0
	s_load_dword s28, s[20:21], 0x0
	;; [unrolled: 1-line block ×4, first 2 shown]
	s_mul_hi_i32 s15, s2, s17
	s_mul_i32 s14, s2, s17
	v_and_b32_e32 v38, 15, v0
	s_lshl_b64 s[2:3], s[14:15], 8
	v_add_u32_e32 v2, s33, v38
	s_add_u32 s16, s18, s2
	v_rsq_f32_e32 v1, 0x42800000
	v_ashrrev_i32_e32 v3, 31, v2
	s_addc_u32 s17, s19, s3
	v_lshlrev_b64 v[2:3], 8, v[2:3]
	v_lshrrev_b32_e32 v40, 2, v0
	v_mov_b32_e32 v5, s17
	v_add_co_u32_e32 v4, vcc, s16, v2
	v_and_b32_e32 v39, 12, v40
	v_mov_b32_e32 v23, 0
	v_cmp_gt_u32_e64 s[2:3], s39, v38
	v_addc_co_u32_e32 v5, vcc, v5, v3, vcc
	v_lshlrev_b32_e32 v41, 2, v39
	v_mov_b32_e32 v22, v23
	s_waitcnt lgkmcnt(0)
	s_barrier
	s_and_saveexec_b64 s[16:17], s[2:3]
	s_cbranch_execz .LBB1_22
; %bb.5:
	v_add_co_u32_e32 v2, vcc, v4, v41
	v_addc_co_u32_e32 v3, vcc, 0, v5, vcc
	global_load_dword v6, v[2:3], off
	s_mov_b32 s18, 0x7f800000
	s_waitcnt vmcnt(0)
	v_mul_f32_e32 v7, v1, v6
	v_and_b32_e32 v6, 0x7f800000, v7
	v_cmp_ne_u32_e32 vcc, s18, v6
                                        ; implicit-def: $vgpr6
	s_and_saveexec_b64 s[18:19], vcc
	s_xor_b64 s[18:19], exec, s[18:19]
; %bb.6:
	v_bfe_u32 v6, v7, 16, 1
	s_movk_i32 s20, 0x7fff
	v_add3_u32 v6, v7, v6, s20
                                        ; implicit-def: $vgpr7
; %bb.7:
	s_andn2_saveexec_b64 s[18:19], s[18:19]
; %bb.8:
	v_mov_b32_e32 v6, 0
	v_or_b32_e32 v8, 0x10000, v7
	v_cmp_eq_u32_sdwa vcc, v7, v6 src0_sel:WORD_0 src1_sel:DWORD
	v_cndmask_b32_e32 v6, v8, v7, vcc
; %bb.9:
	s_or_b64 exec, exec, s[18:19]
	global_load_dword v7, v[2:3], off offset:4
	s_mov_b32 s18, 0x7f800000
	s_waitcnt vmcnt(0)
	v_mul_f32_e32 v8, v1, v7
	v_and_b32_e32 v7, 0x7f800000, v8
	v_cmp_ne_u32_e32 vcc, s18, v7
                                        ; implicit-def: $vgpr7
	s_and_saveexec_b64 s[18:19], vcc
	s_xor_b64 s[18:19], exec, s[18:19]
; %bb.10:
	v_bfe_u32 v7, v8, 16, 1
	s_movk_i32 s20, 0x7fff
	v_add3_u32 v7, v8, v7, s20
                                        ; implicit-def: $vgpr8
; %bb.11:
	s_andn2_saveexec_b64 s[18:19], s[18:19]
; %bb.12:
	v_mov_b32_e32 v7, 0
	v_or_b32_e32 v9, 0x10000, v8
	v_cmp_eq_u32_sdwa vcc, v8, v7 src0_sel:WORD_0 src1_sel:DWORD
	v_cndmask_b32_e32 v7, v9, v8, vcc
; %bb.13:
	s_or_b64 exec, exec, s[18:19]
	global_load_dword v2, v[2:3], off offset:8
	s_mov_b32 s18, 0x7f800000
	s_waitcnt vmcnt(0)
	v_mul_f32_e32 v3, v1, v2
	v_and_b32_e32 v2, 0x7f800000, v3
	v_cmp_ne_u32_e32 vcc, s18, v2
                                        ; implicit-def: $vgpr2
	s_and_saveexec_b64 s[18:19], vcc
	s_xor_b64 s[18:19], exec, s[18:19]
; %bb.14:
	v_bfe_u32 v2, v3, 16, 1
	s_movk_i32 s20, 0x7fff
	v_add3_u32 v2, v3, v2, s20
                                        ; implicit-def: $vgpr3
; %bb.15:
	s_andn2_saveexec_b64 s[18:19], s[18:19]
; %bb.16:
	v_mov_b32_e32 v2, 0
	v_or_b32_e32 v8, 0x10000, v3
	v_cmp_eq_u32_sdwa vcc, v3, v2 src0_sel:WORD_0 src1_sel:DWORD
	v_cndmask_b32_e32 v2, v8, v3, vcc
; %bb.17:
	s_or_b64 exec, exec, s[18:19]
	v_lshl_or_b32 v3, v40, 2, 12
	v_add_co_u32_e32 v8, vcc, v4, v3
	v_addc_co_u32_e32 v9, vcc, 0, v5, vcc
	global_load_dword v3, v[8:9], off
	s_mov_b32 s18, 0x7f800000
	s_waitcnt vmcnt(0)
	v_mul_f32_e32 v3, v1, v3
	v_and_b32_e32 v8, 0x7f800000, v3
	v_cmp_ne_u32_e32 vcc, s18, v8
                                        ; implicit-def: $vgpr8
	s_and_saveexec_b64 s[18:19], vcc
	s_xor_b64 s[18:19], exec, s[18:19]
; %bb.18:
	v_bfe_u32 v8, v3, 16, 1
	s_movk_i32 s20, 0x7fff
	v_add3_u32 v8, v3, v8, s20
                                        ; implicit-def: $vgpr3
; %bb.19:
	s_andn2_saveexec_b64 s[18:19], s[18:19]
; %bb.20:
	v_mov_b32_e32 v8, 0
	v_or_b32_e32 v9, 0x10000, v3
	v_cmp_eq_u32_sdwa vcc, v3, v8 src0_sel:WORD_0 src1_sel:DWORD
	v_cndmask_b32_e32 v8, v9, v3, vcc
; %bb.21:
	s_or_b64 exec, exec, s[18:19]
	s_mov_b32 s18, 0x7060302
	v_perm_b32 v22, v7, v6, s18
	v_perm_b32 v23, v8, v2, s18
.LBB1_22:
	s_or_b64 exec, exec, s[16:17]
	v_mov_b32_e32 v25, 0
	s_lshl_b64 s[48:49], s[14:15], 6
	v_mov_b32_e32 v24, v25
	s_and_saveexec_b64 s[14:15], s[2:3]
	s_cbranch_execz .LBB1_40
; %bb.23:
	v_add_co_u32_e32 v2, vcc, v4, v41
	v_addc_co_u32_e32 v3, vcc, 0, v5, vcc
	global_load_dword v6, v[2:3], off offset:64
	s_mov_b32 s16, 0x7f800000
	s_waitcnt vmcnt(0)
	v_mul_f32_e32 v7, v1, v6
	v_and_b32_e32 v6, 0x7f800000, v7
	v_cmp_ne_u32_e32 vcc, s16, v6
                                        ; implicit-def: $vgpr6
	s_and_saveexec_b64 s[16:17], vcc
	s_xor_b64 s[16:17], exec, s[16:17]
; %bb.24:
	v_bfe_u32 v6, v7, 16, 1
	s_movk_i32 s18, 0x7fff
	v_add3_u32 v6, v7, v6, s18
                                        ; implicit-def: $vgpr7
; %bb.25:
	s_andn2_saveexec_b64 s[16:17], s[16:17]
; %bb.26:
	v_mov_b32_e32 v6, 0
	v_or_b32_e32 v8, 0x10000, v7
	v_cmp_eq_u32_sdwa vcc, v7, v6 src0_sel:WORD_0 src1_sel:DWORD
	v_cndmask_b32_e32 v6, v8, v7, vcc
; %bb.27:
	s_or_b64 exec, exec, s[16:17]
	global_load_dword v7, v[2:3], off offset:68
	s_mov_b32 s16, 0x7f800000
	s_waitcnt vmcnt(0)
	v_mul_f32_e32 v8, v1, v7
	v_and_b32_e32 v7, 0x7f800000, v8
	v_cmp_ne_u32_e32 vcc, s16, v7
                                        ; implicit-def: $vgpr7
	s_and_saveexec_b64 s[16:17], vcc
	s_xor_b64 s[16:17], exec, s[16:17]
; %bb.28:
	v_bfe_u32 v7, v8, 16, 1
	s_movk_i32 s18, 0x7fff
	v_add3_u32 v7, v8, v7, s18
                                        ; implicit-def: $vgpr8
; %bb.29:
	s_andn2_saveexec_b64 s[16:17], s[16:17]
; %bb.30:
	v_mov_b32_e32 v7, 0
	v_or_b32_e32 v9, 0x10000, v8
	v_cmp_eq_u32_sdwa vcc, v8, v7 src0_sel:WORD_0 src1_sel:DWORD
	v_cndmask_b32_e32 v7, v9, v8, vcc
; %bb.31:
	s_or_b64 exec, exec, s[16:17]
	global_load_dword v2, v[2:3], off offset:72
	s_mov_b32 s16, 0x7f800000
	s_waitcnt vmcnt(0)
	v_mul_f32_e32 v3, v1, v2
	v_and_b32_e32 v2, 0x7f800000, v3
	v_cmp_ne_u32_e32 vcc, s16, v2
                                        ; implicit-def: $vgpr2
	s_and_saveexec_b64 s[16:17], vcc
	s_xor_b64 s[16:17], exec, s[16:17]
; %bb.32:
	v_bfe_u32 v2, v3, 16, 1
	s_movk_i32 s18, 0x7fff
	v_add3_u32 v2, v3, v2, s18
                                        ; implicit-def: $vgpr3
; %bb.33:
	s_andn2_saveexec_b64 s[16:17], s[16:17]
; %bb.34:
	v_mov_b32_e32 v2, 0
	v_or_b32_e32 v8, 0x10000, v3
	v_cmp_eq_u32_sdwa vcc, v3, v2 src0_sel:WORD_0 src1_sel:DWORD
	v_cndmask_b32_e32 v2, v8, v3, vcc
; %bb.35:
	s_or_b64 exec, exec, s[16:17]
	v_mov_b32_e32 v3, 0x4c
	v_lshl_or_b32 v3, v40, 2, v3
	v_add_co_u32_e32 v8, vcc, v4, v3
	v_addc_co_u32_e32 v9, vcc, 0, v5, vcc
	global_load_dword v3, v[8:9], off
	s_mov_b32 s16, 0x7f800000
	s_waitcnt vmcnt(0)
	v_mul_f32_e32 v3, v1, v3
	v_and_b32_e32 v8, 0x7f800000, v3
	v_cmp_ne_u32_e32 vcc, s16, v8
                                        ; implicit-def: $vgpr8
	s_and_saveexec_b64 s[16:17], vcc
	s_xor_b64 s[16:17], exec, s[16:17]
; %bb.36:
	v_bfe_u32 v8, v3, 16, 1
	s_movk_i32 s18, 0x7fff
	v_add3_u32 v8, v3, v8, s18
                                        ; implicit-def: $vgpr3
; %bb.37:
	s_andn2_saveexec_b64 s[16:17], s[16:17]
; %bb.38:
	v_mov_b32_e32 v8, 0
	v_or_b32_e32 v9, 0x10000, v3
	v_cmp_eq_u32_sdwa vcc, v3, v8 src0_sel:WORD_0 src1_sel:DWORD
	v_cndmask_b32_e32 v8, v9, v3, vcc
; %bb.39:
	s_or_b64 exec, exec, s[16:17]
	s_mov_b32 s16, 0x7060302
	v_perm_b32 v24, v7, v6, s16
	v_perm_b32 v25, v8, v2, s16
.LBB1_40:
	s_or_b64 exec, exec, s[14:15]
	v_mov_b32_e32 v27, 0
	v_mov_b32_e32 v26, v27
	s_and_saveexec_b64 s[14:15], s[2:3]
	s_cbranch_execz .LBB1_58
; %bb.41:
	v_add_co_u32_e32 v2, vcc, v4, v41
	v_addc_co_u32_e32 v3, vcc, 0, v5, vcc
	global_load_dword v6, v[2:3], off offset:128
	s_mov_b32 s16, 0x7f800000
	s_waitcnt vmcnt(0)
	v_mul_f32_e32 v7, v1, v6
	v_and_b32_e32 v6, 0x7f800000, v7
	v_cmp_ne_u32_e32 vcc, s16, v6
                                        ; implicit-def: $vgpr6
	s_and_saveexec_b64 s[16:17], vcc
	s_xor_b64 s[16:17], exec, s[16:17]
; %bb.42:
	v_bfe_u32 v6, v7, 16, 1
	s_movk_i32 s18, 0x7fff
	v_add3_u32 v6, v7, v6, s18
                                        ; implicit-def: $vgpr7
; %bb.43:
	s_andn2_saveexec_b64 s[16:17], s[16:17]
; %bb.44:
	v_mov_b32_e32 v6, 0
	v_or_b32_e32 v8, 0x10000, v7
	v_cmp_eq_u32_sdwa vcc, v7, v6 src0_sel:WORD_0 src1_sel:DWORD
	v_cndmask_b32_e32 v6, v8, v7, vcc
; %bb.45:
	s_or_b64 exec, exec, s[16:17]
	global_load_dword v7, v[2:3], off offset:132
	s_mov_b32 s16, 0x7f800000
	s_waitcnt vmcnt(0)
	v_mul_f32_e32 v8, v1, v7
	v_and_b32_e32 v7, 0x7f800000, v8
	v_cmp_ne_u32_e32 vcc, s16, v7
                                        ; implicit-def: $vgpr7
	s_and_saveexec_b64 s[16:17], vcc
	s_xor_b64 s[16:17], exec, s[16:17]
; %bb.46:
	v_bfe_u32 v7, v8, 16, 1
	s_movk_i32 s18, 0x7fff
	v_add3_u32 v7, v8, v7, s18
                                        ; implicit-def: $vgpr8
; %bb.47:
	s_andn2_saveexec_b64 s[16:17], s[16:17]
; %bb.48:
	v_mov_b32_e32 v7, 0
	v_or_b32_e32 v9, 0x10000, v8
	v_cmp_eq_u32_sdwa vcc, v8, v7 src0_sel:WORD_0 src1_sel:DWORD
	v_cndmask_b32_e32 v7, v9, v8, vcc
; %bb.49:
	s_or_b64 exec, exec, s[16:17]
	global_load_dword v2, v[2:3], off offset:136
	s_mov_b32 s16, 0x7f800000
	s_waitcnt vmcnt(0)
	v_mul_f32_e32 v3, v1, v2
	v_and_b32_e32 v2, 0x7f800000, v3
	v_cmp_ne_u32_e32 vcc, s16, v2
                                        ; implicit-def: $vgpr2
	s_and_saveexec_b64 s[16:17], vcc
	s_xor_b64 s[16:17], exec, s[16:17]
; %bb.50:
	v_bfe_u32 v2, v3, 16, 1
	s_movk_i32 s18, 0x7fff
	v_add3_u32 v2, v3, v2, s18
                                        ; implicit-def: $vgpr3
; %bb.51:
	s_andn2_saveexec_b64 s[16:17], s[16:17]
; %bb.52:
	v_mov_b32_e32 v2, 0
	v_or_b32_e32 v8, 0x10000, v3
	v_cmp_eq_u32_sdwa vcc, v3, v2 src0_sel:WORD_0 src1_sel:DWORD
	v_cndmask_b32_e32 v2, v8, v3, vcc
; %bb.53:
	s_or_b64 exec, exec, s[16:17]
	v_mov_b32_e32 v3, 0x8c
	v_lshl_or_b32 v3, v40, 2, v3
	v_add_co_u32_e32 v8, vcc, v4, v3
	v_addc_co_u32_e32 v9, vcc, 0, v5, vcc
	global_load_dword v3, v[8:9], off
	s_mov_b32 s16, 0x7f800000
	s_waitcnt vmcnt(0)
	v_mul_f32_e32 v3, v1, v3
	v_and_b32_e32 v8, 0x7f800000, v3
	v_cmp_ne_u32_e32 vcc, s16, v8
                                        ; implicit-def: $vgpr8
	s_and_saveexec_b64 s[16:17], vcc
	s_xor_b64 s[16:17], exec, s[16:17]
; %bb.54:
	v_bfe_u32 v8, v3, 16, 1
	s_movk_i32 s18, 0x7fff
	v_add3_u32 v8, v3, v8, s18
                                        ; implicit-def: $vgpr3
; %bb.55:
	s_andn2_saveexec_b64 s[16:17], s[16:17]
; %bb.56:
	v_mov_b32_e32 v8, 0
	v_or_b32_e32 v9, 0x10000, v3
	v_cmp_eq_u32_sdwa vcc, v3, v8 src0_sel:WORD_0 src1_sel:DWORD
	v_cndmask_b32_e32 v8, v9, v3, vcc
; %bb.57:
	s_or_b64 exec, exec, s[16:17]
	s_mov_b32 s16, 0x7060302
	v_perm_b32 v26, v7, v6, s16
	v_perm_b32 v27, v8, v2, s16
.LBB1_58:
	s_or_b64 exec, exec, s[14:15]
	v_mov_b32_e32 v29, 0
	v_mov_b32_e32 v28, v29
	s_and_saveexec_b64 s[14:15], s[2:3]
	s_cbranch_execz .LBB1_76
; %bb.59:
	v_add_co_u32_e32 v2, vcc, v4, v41
	v_addc_co_u32_e32 v3, vcc, 0, v5, vcc
	global_load_dword v6, v[2:3], off offset:192
	s_mov_b32 s16, 0x7f800000
	s_waitcnt vmcnt(0)
	v_mul_f32_e32 v7, v1, v6
	v_and_b32_e32 v6, 0x7f800000, v7
	v_cmp_ne_u32_e32 vcc, s16, v6
                                        ; implicit-def: $vgpr6
	s_and_saveexec_b64 s[16:17], vcc
	s_xor_b64 s[16:17], exec, s[16:17]
; %bb.60:
	v_bfe_u32 v6, v7, 16, 1
	s_movk_i32 s18, 0x7fff
	v_add3_u32 v6, v7, v6, s18
                                        ; implicit-def: $vgpr7
; %bb.61:
	s_andn2_saveexec_b64 s[16:17], s[16:17]
; %bb.62:
	v_mov_b32_e32 v6, 0
	v_or_b32_e32 v8, 0x10000, v7
	v_cmp_eq_u32_sdwa vcc, v7, v6 src0_sel:WORD_0 src1_sel:DWORD
	v_cndmask_b32_e32 v6, v8, v7, vcc
; %bb.63:
	s_or_b64 exec, exec, s[16:17]
	global_load_dword v7, v[2:3], off offset:196
	s_mov_b32 s16, 0x7f800000
	s_waitcnt vmcnt(0)
	v_mul_f32_e32 v8, v1, v7
	v_and_b32_e32 v7, 0x7f800000, v8
	v_cmp_ne_u32_e32 vcc, s16, v7
                                        ; implicit-def: $vgpr7
	s_and_saveexec_b64 s[16:17], vcc
	s_xor_b64 s[16:17], exec, s[16:17]
; %bb.64:
	v_bfe_u32 v7, v8, 16, 1
	s_movk_i32 s18, 0x7fff
	v_add3_u32 v7, v8, v7, s18
                                        ; implicit-def: $vgpr8
; %bb.65:
	s_andn2_saveexec_b64 s[16:17], s[16:17]
; %bb.66:
	v_mov_b32_e32 v7, 0
	v_or_b32_e32 v9, 0x10000, v8
	v_cmp_eq_u32_sdwa vcc, v8, v7 src0_sel:WORD_0 src1_sel:DWORD
	v_cndmask_b32_e32 v7, v9, v8, vcc
; %bb.67:
	s_or_b64 exec, exec, s[16:17]
	global_load_dword v2, v[2:3], off offset:200
	s_mov_b32 s16, 0x7f800000
	s_waitcnt vmcnt(0)
	v_mul_f32_e32 v3, v1, v2
	v_and_b32_e32 v2, 0x7f800000, v3
	v_cmp_ne_u32_e32 vcc, s16, v2
                                        ; implicit-def: $vgpr2
	s_and_saveexec_b64 s[16:17], vcc
	s_xor_b64 s[16:17], exec, s[16:17]
; %bb.68:
	v_bfe_u32 v2, v3, 16, 1
	s_movk_i32 s18, 0x7fff
	v_add3_u32 v2, v3, v2, s18
                                        ; implicit-def: $vgpr3
; %bb.69:
	s_andn2_saveexec_b64 s[16:17], s[16:17]
; %bb.70:
	v_mov_b32_e32 v2, 0
	v_or_b32_e32 v8, 0x10000, v3
	v_cmp_eq_u32_sdwa vcc, v3, v2 src0_sel:WORD_0 src1_sel:DWORD
	v_cndmask_b32_e32 v2, v8, v3, vcc
; %bb.71:
	s_or_b64 exec, exec, s[16:17]
	v_mov_b32_e32 v3, 0xcc
	v_lshl_or_b32 v3, v40, 2, v3
	v_add_co_u32_e32 v4, vcc, v4, v3
	v_addc_co_u32_e32 v5, vcc, 0, v5, vcc
	global_load_dword v3, v[4:5], off
	s_mov_b32 s16, 0x7f800000
	s_waitcnt vmcnt(0)
	v_mul_f32_e32 v1, v1, v3
	v_and_b32_e32 v3, 0x7f800000, v1
	v_cmp_ne_u32_e32 vcc, s16, v3
                                        ; implicit-def: $vgpr3
	s_and_saveexec_b64 s[16:17], vcc
	s_xor_b64 s[16:17], exec, s[16:17]
; %bb.72:
	v_bfe_u32 v3, v1, 16, 1
	s_movk_i32 s18, 0x7fff
	v_add3_u32 v3, v1, v3, s18
                                        ; implicit-def: $vgpr1
; %bb.73:
	s_andn2_saveexec_b64 s[16:17], s[16:17]
; %bb.74:
	v_mov_b32_e32 v3, 0
	v_or_b32_e32 v4, 0x10000, v1
	v_cmp_eq_u32_sdwa vcc, v1, v3 src0_sel:WORD_0 src1_sel:DWORD
	v_cndmask_b32_e32 v3, v4, v1, vcc
; %bb.75:
	s_or_b64 exec, exec, s[16:17]
	s_mov_b32 s16, 0x7060302
	v_perm_b32 v28, v7, v6, s16
	v_perm_b32 v29, v3, v2, s16
.LBB1_76:
	s_or_b64 exec, exec, s[14:15]
	s_sub_i32 s14, s60, s61
	s_max_i32 s14, s14, -1
	s_add_i32 s16, s14, 1
	s_mov_b32 s44, 0
	s_cmp_lg_u32 s28, 0
	s_mov_b32 s45, s44
	s_cselect_b64 s[50:51], -1, 0
	s_mov_b32 s46, s44
	s_mov_b32 s47, s44
	v_pk_mov_b32 v[10:11], s[44:45], s[44:45] op_sel:[0,1]
	s_and_b64 s[14:15], s[50:51], exec
	v_pk_mov_b32 v[12:13], s[46:47], s[46:47] op_sel:[0,1]
	s_cselect_b32 s63, s16, 0
	s_min_u32 s62, s39, 16
	v_pk_mov_b32 v[2:3], v[10:11], v[10:11] op_sel:[0,1]
	v_pk_mov_b32 v[6:7], v[10:11], v[10:11] op_sel:[0,1]
	;; [unrolled: 1-line block ×3, first 2 shown]
	s_cmp_le_i32 s63, s60
	v_cmp_gt_u32_e64 s[30:31], s39, v39
	v_cmp_eq_u32_e64 s[28:29], 0, v38
	v_or_b32_e32 v44, 1, v39
	v_or_b32_e32 v43, 2, v39
	;; [unrolled: 1-line block ×3, first 2 shown]
	v_pk_mov_b32 v[4:5], v[12:13], v[12:13] op_sel:[0,1]
	v_pk_mov_b32 v[8:9], v[12:13], v[12:13] op_sel:[0,1]
	;; [unrolled: 1-line block ×3, first 2 shown]
	s_cbranch_scc0 .LBB1_236
; %bb.77:
	s_load_dword s4, s[4:5], 0x80
	s_mul_i32 s16, s61, s38
	s_mul_hi_i32 s15, s61, s38
	s_mul_hi_u32 s17, s16, s7
	s_mul_i32 s15, s15, s7
	s_waitcnt lgkmcnt(0)
	s_add_i32 s5, s4, -1
	s_cmp_lt_u32 s5, 16
	s_cselect_b32 s64, s4, 16
	s_add_i32 s66, s61, -1
	s_add_i32 s65, s60, 1
	s_and_b32 s4, s61, s66
	s_cmp_lg_u32 s4, 0
	s_cselect_b64 s[46:47], -1, 0
	s_ashr_i32 s14, s7, 31
	s_mul_i32 s14, s16, s14
	s_add_i32 s14, s17, s14
	v_mbcnt_lo_u32_b32 v1, -1, 0
	s_ashr_i32 s5, s38, 31
	s_add_i32 s14, s14, s15
	s_mul_i32 s16, s16, s7
	v_mbcnt_hi_u32_b32 v1, -1, v1
	s_add_u32 s12, s16, s12
	v_lshlrev_b32_e32 v3, 2, v1
	v_lshlrev_b32_e32 v4, 5, v38
	s_addc_u32 s13, s14, s13
	v_and_b32_e32 v47, 0x1c0, v3
	v_lshlrev_b32_e32 v3, 1, v39
	v_or_b32_e32 v5, 0x800, v4
	v_lshlrev_b32_e32 v6, 1, v42
	s_lshl_b64 s[12:13], s[12:13], 1
	v_or_b32_e32 v48, v5, v3
	v_add_u32_e32 v49, v5, v6
	v_lshlrev_b32_e32 v5, 5, v0
	s_add_u32 s8, s8, s12
	v_or_b32_e32 v7, 0x600, v5
	s_addc_u32 s9, s9, s13
	v_add_u32_e32 v7, 0x800, v7
	v_lshlrev_b32_e32 v52, 1, v0
	s_add_u32 s10, s10, s12
	v_or_b32_e32 v50, v7, v3
	v_add_u32_e32 v51, v7, v6
	v_mov_b32_e32 v7, s9
	v_add_co_u32_e32 v53, vcc, s8, v52
	s_addc_u32 s11, s11, s13
	v_addc_co_u32_e32 v54, vcc, 0, v7, vcc
	v_mov_b32_e32 v7, s11
	v_add_co_u32_e32 v55, vcc, s10, v52
	v_lshlrev_b32_e32 v8, 1, v40
	v_and_b32_e32 v2, 15, v1
	v_addc_co_u32_e32 v56, vcc, 0, v7, vcc
	v_lshlrev_b32_e32 v7, 7, v38
	v_or_b32_e32 v9, 38, v8
	v_add_u32_e32 v59, v7, v9
	v_or_b32_e32 v9, 0x46, v8
	v_or_b32_e32 v8, 0x66, v8
	v_cmp_gt_u32_e32 vcc, 8, v2
	v_or_b32_e32 v57, v7, v3
	v_add_u32_e32 v58, v7, v6
	v_add_u32_e32 v60, v7, v9
	;; [unrolled: 1-line block ×3, first 2 shown]
	v_cndmask_b32_e64 v7, 0, 1, vcc
	v_lshlrev_b32_e32 v7, 3, v7
	v_cmp_gt_u32_e32 vcc, 12, v2
	v_add_lshl_u32 v62, v7, v1, 2
	v_cndmask_b32_e64 v7, 0, 1, vcc
	v_lshlrev_b32_e32 v7, 2, v7
	v_cmp_gt_u32_e32 vcc, 14, v2
	v_add_lshl_u32 v63, v7, v1, 2
	v_cndmask_b32_e64 v7, 0, 1, vcc
	v_lshlrev_b32_e32 v7, 1, v7
	v_cmp_ne_u32_e32 vcc, 15, v2
	s_mov_b32 s4, s38
	v_add_lshl_u32 v64, v7, v1, 2
	v_addc_co_u32_e32 v1, vcc, 0, v1, vcc
	s_lshl_b64 s[54:55], s[4:5], 1
	s_movk_i32 s4, 0x100
	v_lshlrev_b32_e32 v65, 2, v1
	v_lshlrev_b32_e32 v1, 2, v42
	v_cmp_gt_u32_e64 s[8:9], s4, v0
	v_add_u32_e32 v67, 0x1200, v1
	v_add_u32_e32 v68, 0x1280, v1
	;; [unrolled: 1-line block ×5, first 2 shown]
	v_lshlrev_b32_e32 v1, 1, v38
	v_lshlrev_b32_e32 v2, 5, v39
	s_movk_i32 s4, 0x1000
	v_or3_b32 v72, v2, v1, s4
	v_lshl_or_b32 v1, v42, 5, v1
	s_abs_i32 s38, s61
	v_add_u32_e32 v73, 0x1000, v1
	v_cvt_f32_u32_e32 v1, s38
	v_or_b32_e32 v2, 0x1000, v4
	v_or_b32_e32 v74, v2, v3
	v_add_u32_e32 v75, v2, v6
	v_rcp_iflag_f32_e32 v2, v1
	s_sub_i32 s4, 0, s38
	s_ashr_i32 s7, s6, 31
	s_lshl_b64 s[52:53], s[6:7], 7
	v_mul_f32_e32 v2, 0x4f7ffffe, v2
	v_cvt_u32_f32_e32 v2, v2
	v_mov_b32_e32 v45, 0x12c0
	v_mov_b32_e32 v78, 0
	v_lshl_or_b32 v46, v38, 2, v45
	v_mul_lo_u32 v3, s4, v2
	v_mul_hi_u32 v3, v2, v3
	v_add_u32_e32 v76, v2, v3
	v_mov_b32_e32 v2, 0x800
	v_cmp_le_u32_e64 s[10:11], s39, v39
	v_cmp_le_u32_e64 s[12:13], s62, v44
	v_cmp_gt_u32_e64 s[14:15], s62, v44
	v_cmp_le_u32_e64 s[16:17], s62, v43
	v_cmp_gt_u32_e64 s[18:19], s62, v43
	;; [unrolled: 2-line block ×3, first 2 shown]
	v_or_b32_e32 v66, 0x1200, v41
	v_cmp_gt_u32_e64 s[24:25], 64, v0
	v_or_b32_e32 v1, 64, v0
	s_mov_b32 s67, s54
	s_mov_b32 s68, s55
	;; [unrolled: 1-line block ×4, first 2 shown]
	s_sub_i32 s69, s65, s63
	v_add_u32_e32 v77, 0x800, v5
	s_mov_b32 s70, 0x5040100
	s_mov_b32 s71, 0xff800000
	;; [unrolled: 1-line block ×3, first 2 shown]
	s_movk_i32 s73, 0x7fff
	s_mov_b32 s74, 0xffff
	v_lshl_add_u32 v79, v0, 5, v2
	s_mov_b32 s75, 0
	s_mov_b32 s76, s63
	v_mov_b32_e32 v10, 0
	v_mov_b32_e32 v11, v78
	;; [unrolled: 1-line block ×16, first 2 shown]
	v_or_b32_e32 v80, 0x1280, v41
	v_or_b32_e32 v81, 0x1300, v41
	;; [unrolled: 1-line block ×4, first 2 shown]
	v_mov_b32_e32 v84, 0xff800000
	v_mov_b32_e32 v31, 0
	s_branch .LBB1_79
.LBB1_78:                               ;   in Loop: Header=BB1_79 Depth=1
	s_or_b64 exec, exec, s[4:5]
	v_mul_f32_e32 v10, v10, v85
	v_mul_f32_e32 v11, v11, v86
	;; [unrolled: 1-line block ×16, first 2 shown]
	v_mfma_f32_16x16x16bf16_1k v[10:13], v[18:19], v[20:21], v[10:13]
	s_add_i32 s76, s76, s64
	s_add_i32 s75, s75, 1
	s_sub_i32 s69, s69, s64
	s_cmp_gt_i32 s76, s60
	s_barrier
	v_mfma_f32_16x16x16bf16_1k v[2:5], v[18:19], v[32:33], v[2:5]
	v_mfma_f32_16x16x16bf16_1k v[6:9], v[18:19], v[34:35], v[6:9]
	v_mfma_f32_16x16x16bf16_1k v[14:17], v[18:19], v[36:37], v[14:17]
	s_cbranch_scc1 .LBB1_236
.LBB1_79:                               ; =>This Loop Header: Depth=1
                                        ;     Child Loop BB1_87 Depth 2
                                        ;     Child Loop BB1_98 Depth 2
	s_sub_i32 s4, s65, s76
	s_min_i32 s77, s4, s64
	v_cmp_le_i32_e64 s[26:27], s77, v38
	v_cmp_gt_i32_e64 s[6:7], s77, v38
	s_mov_b64 s[34:35], 0
                                        ; implicit-def: $vgpr18
	s_and_saveexec_b64 s[4:5], s[6:7]
	s_xor_b64 s[4:5], exec, s[4:5]
	s_cbranch_execnz .LBB1_91
; %bb.80:                               ;   in Loop: Header=BB1_79 Depth=1
	s_andn2_saveexec_b64 s[4:5], s[4:5]
	s_cbranch_execnz .LBB1_235
.LBB1_81:                               ;   in Loop: Header=BB1_79 Depth=1
	s_or_b64 exec, exec, s[4:5]
	s_and_saveexec_b64 s[4:5], s[34:35]
	s_cbranch_execz .LBB1_83
.LBB1_82:                               ;   in Loop: Header=BB1_79 Depth=1
	ds_write_b32 v46, v18
.LBB1_83:                               ;   in Loop: Header=BB1_79 Depth=1
	s_or_b64 exec, exec, s[4:5]
	s_min_i32 s78, s77, 16
	s_lshl_b32 s45, s78, 6
	v_cmp_gt_i32_e32 vcc, s45, v0
	s_waitcnt lgkmcnt(0)
	s_barrier
	s_and_saveexec_b64 s[58:59], vcc
	s_cbranch_execz .LBB1_99
; %bb.84:                               ;   in Loop: Header=BB1_79 Depth=1
	s_mul_i32 s4, s64, s75
	s_add_i32 s4, s63, s4
	s_sub_i32 s4, s65, s4
	v_mov_b32_e32 v18, s4
	v_min3_i32 v18, s64, v18, 16
	v_readfirstlane_b32 s4, v18
	s_add_i32 s4, s4, -1
	s_and_b32 s79, s4, 0x3ffffff
	s_cmp_lg_u32 s79, 0
	s_cbranch_scc0 .LBB1_96
; %bb.85:                               ;   in Loop: Header=BB1_79 Depth=1
	s_add_i32 s80, s79, -1
	s_cmp_lt_u32 s80, 2
	v_pk_mov_b32 v[18:19], v[0:1], v[0:1] op_sel:[0,1]
	s_cbranch_scc1 .LBB1_88
; %bb.86:                               ;   in Loop: Header=BB1_79 Depth=1
	v_mov_b32_e32 v18, s69
	v_min3_i32 v18, s64, v18, 16
	v_readfirstlane_b32 s4, v18
	s_add_i32 s4, s4, -1
	s_and_b32 s4, s4, 0x3ffffff
	s_add_i32 s4, s4, -1
	s_lshr_b32 s4, s4, 1
	s_add_i32 s4, s4, 1
	s_and_b32 s81, s4, -2
	v_pk_mov_b32 v[18:19], v[0:1], v[0:1] op_sel:[0,1]
.LBB1_87:                               ;   Parent Loop BB1_79 Depth=1
                                        ; =>  This Inner Loop Header: Depth=2
	v_lshrrev_b32_e32 v30, 6, v18
	v_add_u32_e32 v34, 0x80, v18
	v_lshl_add_u32 v35, v30, 2, v45
	v_lshrrev_b32_e32 v85, 6, v34
	ds_read2_b32 v[34:35], v35 offset1:1
	v_lshl_add_u32 v36, v85, 2, v45
	ds_read2_b32 v[36:37], v36 offset1:1
	v_pk_mov_b32 v[20:21], s[56:57], s[56:57] op_sel:[0,1]
	v_pk_mov_b32 v[32:33], s[52:53], s[52:53] op_sel:[0,1]
	s_waitcnt lgkmcnt(1)
	v_ashrrev_i32_e32 v90, 31, v34
	v_ashrrev_i32_e32 v91, 31, v35
	v_mad_u64_u32 v[86:87], s[4:5], s67, v35, v[20:21]
	v_mul_lo_u32 v35, s68, v35
	v_mad_u64_u32 v[88:89], s[4:5], s54, v34, v[32:33]
	v_mul_lo_u32 v34, s55, v34
	v_mul_lo_u32 v91, s67, v91
	;; [unrolled: 1-line block ×3, first 2 shown]
	s_waitcnt lgkmcnt(0)
	v_mad_u64_u32 v[20:21], s[4:5], s67, v37, v[20:21]
	v_mad_u64_u32 v[32:33], s[4:5], s54, v36, v[32:33]
	v_ashrrev_i32_e32 v92, 31, v36
	v_ashrrev_i32_e32 v93, 31, v37
	v_mul_lo_u32 v94, s68, v37
	v_mul_lo_u32 v95, s55, v36
	v_add3_u32 v87, v35, v87, v91
	v_add3_u32 v37, v34, v89, v90
	v_add_co_u32_e32 v34, vcc, v53, v86
	v_add_co_u32_e64 v36, s[4:5], v55, v88
	v_add_co_u32_e64 v86, s[34:35], v55, v86
	;; [unrolled: 1-line block ×3, first 2 shown]
	v_mul_lo_u32 v90, s67, v93
	v_mul_lo_u32 v91, s54, v92
	v_addc_co_u32_e64 v89, s[36:37], v54, v37, s[36:37]
	v_addc_co_u32_e32 v35, vcc, v54, v87, vcc
	v_addc_co_u32_e64 v37, vcc, v56, v37, s[4:5]
	v_addc_co_u32_e64 v87, vcc, v56, v87, s[34:35]
	v_add3_u32 v21, v94, v21, v90
	v_add3_u32 v33, v95, v33, v91
	v_add_co_u32_e32 v90, vcc, v53, v32
	v_add_co_u32_e64 v92, s[4:5], v53, v20
	v_add_co_u32_e64 v32, s[34:35], v55, v32
	;; [unrolled: 1-line block ×3, first 2 shown]
	v_addc_co_u32_e32 v91, vcc, v54, v33, vcc
	v_addc_co_u32_e64 v93, vcc, v54, v21, s[4:5]
	v_addc_co_u32_e64 v33, vcc, v56, v33, s[34:35]
	;; [unrolled: 1-line block ×3, first 2 shown]
	global_load_ushort v88, v[88:89], off
	s_nop 0
	global_load_ushort v34, v[34:35], off
	s_nop 0
	;; [unrolled: 2-line block ×6, first 2 shown]
	global_load_ushort v21, v[90:91], off
	global_load_ushort v33, v[92:93], off
	v_lshlrev_b32_e32 v37, 1, v19
	s_add_i32 s81, s81, -2
	v_and_b32_e32 v87, 0xffffff80, v37
	v_add_u32_e32 v37, 0x100, v37
	v_add_u32_e32 v19, 0x100, v19
	;; [unrolled: 1-line block ×3, first 2 shown]
	v_lshl_add_u32 v86, v30, 7, v52
	s_cmp_lg_u32 s81, 0
	v_lshl_add_u32 v89, v85, 7, v52
	v_and_b32_e32 v37, 0xffffff80, v37
	v_lshl_add_u32 v30, v30, 1, v79
	v_add_u32_e32 v87, v87, v52
	v_lshl_add_u32 v85, v85, 1, v79
	v_add_u32_e32 v37, v37, v52
	s_waitcnt vmcnt(2)
	v_perm_b32 v20, v20, v32, s70
	v_perm_b32 v35, v36, v35, s70
	ds_write_b16 v86, v88
	ds_write_b16 v87, v34
	ds_write_b32 v30, v35
	s_waitcnt vmcnt(1)
	ds_write_b16 v89, v21
	s_waitcnt vmcnt(0)
	ds_write_b16 v37, v33
	ds_write_b32 v85, v20
	s_cbranch_scc1 .LBB1_87
.LBB1_88:                               ;   in Loop: Header=BB1_79 Depth=1
	s_bitcmp1_b32 s80, 1
	s_cbranch_scc1 .LBB1_90
; %bb.89:                               ;   in Loop: Header=BB1_79 Depth=1
	v_lshrrev_b32_e32 v18, 6, v18
	v_lshl_add_u32 v20, v18, 2, v45
	ds_read2_b32 v[20:21], v20 offset1:1
	v_mov_b32_e32 v32, s56
	v_mov_b32_e32 v33, s57
	;; [unrolled: 1-line block ×3, first 2 shown]
	v_lshlrev_b32_e32 v19, 1, v19
	s_waitcnt lgkmcnt(0)
	v_ashrrev_i32_e32 v34, 31, v21
	v_mul_lo_u32 v34, s67, v34
	v_mad_u64_u32 v[32:33], s[4:5], s67, v21, v[32:33]
	v_mul_lo_u32 v21, s68, v21
	v_ashrrev_i32_e32 v30, 31, v20
	v_add3_u32 v33, v21, v33, v34
	v_mov_b32_e32 v34, s52
	v_mul_lo_u32 v21, s54, v30
	v_mad_u64_u32 v[34:35], s[4:5], s54, v20, v[34:35]
	v_mul_lo_u32 v20, s55, v20
	v_add3_u32 v30, v20, v35, v21
	v_add_co_u32_e32 v20, vcc, v53, v34
	v_addc_co_u32_e32 v21, vcc, v54, v30, vcc
	v_add_co_u32_e32 v36, vcc, v53, v32
	v_addc_co_u32_e32 v37, vcc, v54, v33, vcc
	;; [unrolled: 2-line block ×4, first 2 shown]
	global_load_ushort v30, v[34:35], off
	s_nop 0
	global_load_ushort v32, v[32:33], off
	s_nop 0
	;; [unrolled: 2-line block ×3, first 2 shown]
	global_load_ushort v21, v[36:37], off
	v_lshl_add_u32 v33, v18, 7, v52
	v_lshlrev_b32_e32 v18, 1, v18
	v_and_b32_e32 v19, 0xffffff80, v19
	v_lshl_add_u32 v18, v0, 5, v18
	v_add_u32_e32 v19, v19, v52
	s_waitcnt vmcnt(1)
	ds_write_b16 v33, v20
	s_waitcnt vmcnt(0)
	ds_write_b16 v19, v21
	v_perm_b32 v30, v32, v30, s70
	ds_write_b32 v18, v30 offset:2048
.LBB1_90:                               ;   in Loop: Header=BB1_79 Depth=1
	s_add_i32 s79, s79, 1
	s_and_b32 s4, s79, 0x7fffffe
	s_cmp_lg_u32 s79, s4
	v_lshl_or_b32 v18, s4, 6, v0
	s_cselect_b64 s[4:5], -1, 0
	s_and_b64 vcc, exec, s[4:5]
	s_cbranch_vccnz .LBB1_97
	s_branch .LBB1_99
.LBB1_91:                               ;   in Loop: Header=BB1_79 Depth=1
	s_andn2_b64 vcc, exec, s[50:51]
	v_add_u32_e32 v18, s76, v38
	s_cbranch_vccnz .LBB1_234
; %bb.92:                               ;   in Loop: Header=BB1_79 Depth=1
	s_and_b64 vcc, exec, s[46:47]
	s_cbranch_vccz .LBB1_231
; %bb.93:                               ;   in Loop: Header=BB1_79 Depth=1
	v_cmp_le_i32_e32 vcc, s61, v18
	v_mov_b32_e32 v19, v18
	s_and_saveexec_b64 s[34:35], vcc
	s_cbranch_execz .LBB1_95
; %bb.94:                               ;   in Loop: Header=BB1_79 Depth=1
	v_sub_u32_e32 v20, 0, v18
	v_max_i32_e32 v20, v18, v20
	v_mul_hi_u32 v21, v20, v76
	v_mul_lo_u32 v21, v21, s38
	v_sub_u32_e32 v20, v20, v21
	v_subrev_u32_e32 v21, s38, v20
	v_cmp_le_u32_e32 vcc, s38, v20
	v_cndmask_b32_e32 v20, v20, v21, vcc
	v_subrev_u32_e32 v21, s38, v20
	v_cmp_le_u32_e32 vcc, s38, v20
	v_ashrrev_i32_e32 v19, 31, v18
	v_cndmask_b32_e32 v20, v20, v21, vcc
	v_xor_b32_e32 v20, v20, v19
	v_sub_u32_e32 v19, v20, v19
.LBB1_95:                               ;   in Loop: Header=BB1_79 Depth=1
	s_or_b64 exec, exec, s[34:35]
	s_cbranch_execz .LBB1_232
	s_branch .LBB1_233
.LBB1_96:                               ;   in Loop: Header=BB1_79 Depth=1
	v_mov_b32_e32 v18, v0
	s_cbranch_execz .LBB1_99
.LBB1_97:                               ;   in Loop: Header=BB1_79 Depth=1
	v_lshrrev_b32_e32 v21, 6, v18
	v_lshl_add_u32 v19, v21, 1, v77
	v_lshl_add_u32 v20, v21, 7, v52
	;; [unrolled: 1-line block ×3, first 2 shown]
	s_mov_b64 s[34:35], 0
.LBB1_98:                               ;   Parent Loop BB1_79 Depth=1
                                        ; =>  This Inner Loop Header: Depth=2
	ds_read_b32 v30, v21
	v_pk_mov_b32 v[32:33], s[52:53], s[52:53] op_sel:[0,1]
	v_add_u32_e32 v18, 64, v18
	v_add_u32_e32 v21, 4, v21
	s_waitcnt lgkmcnt(0)
	v_ashrrev_i32_e32 v34, 31, v30
	v_mad_u64_u32 v[32:33], s[4:5], s54, v30, v[32:33]
	v_mul_lo_u32 v30, s55, v30
	v_mul_lo_u32 v34, s54, v34
	v_add3_u32 v30, v30, v33, v34
	v_add_co_u32_e32 v34, vcc, v55, v32
	v_add_co_u32_e64 v32, s[4:5], v53, v32
	v_addc_co_u32_e64 v33, s[4:5], v54, v30, s[4:5]
	v_addc_co_u32_e32 v35, vcc, v56, v30, vcc
	global_load_ushort v30, v[32:33], off
	s_nop 0
	global_load_ushort v32, v[34:35], off
	v_cmp_le_i32_e32 vcc, s45, v18
	s_or_b64 s[34:35], vcc, s[34:35]
	s_waitcnt vmcnt(1)
	ds_write_b16 v20, v30
	s_waitcnt vmcnt(0)
	ds_write_b16 v19, v32
	v_add_u32_e32 v19, 2, v19
	v_add_u32_e32 v20, 0x80, v20
	s_andn2_b64 exec, exec, s[34:35]
	s_cbranch_execnz .LBB1_98
.LBB1_99:                               ;   in Loop: Header=BB1_79 Depth=1
	s_or_b64 exec, exec, s[58:59]
	v_mov_b32_e32 v34, 0
	v_mov_b32_e32 v18, 0
	;; [unrolled: 1-line block ×3, first 2 shown]
	s_waitcnt lgkmcnt(0)
	s_barrier
	s_and_saveexec_b64 s[4:5], s[6:7]
	s_cbranch_execz .LBB1_103
; %bb.100:                              ;   in Loop: Header=BB1_79 Depth=1
	ds_read_u16 v19, v57 offset:4
	ds_read_b32 v18, v57
	s_waitcnt lgkmcnt(1)
	v_and_b32_e32 v19, 0xffff, v19
	s_and_saveexec_b64 s[34:35], s[8:9]
	s_cbranch_execz .LBB1_102
; %bb.101:                              ;   in Loop: Header=BB1_79 Depth=1
	ds_read_u16 v20, v58
	s_waitcnt lgkmcnt(0)
	v_perm_b32 v19, v20, v19, s70
.LBB1_102:                              ;   in Loop: Header=BB1_79 Depth=1
	s_or_b64 exec, exec, s[34:35]
.LBB1_103:                              ;   in Loop: Header=BB1_79 Depth=1
	s_or_b64 exec, exec, s[4:5]
	s_waitcnt lgkmcnt(0)
	v_mfma_f32_16x16x16bf16_1k v[18:21], v[22:23], v[18:19], 0
	v_mov_b32_e32 v35, 0
	s_and_saveexec_b64 s[4:5], s[6:7]
	s_cbranch_execz .LBB1_107
; %bb.104:                              ;   in Loop: Header=BB1_79 Depth=1
	ds_read_u16 v30, v57 offset:36
	ds_read_b32 v34, v57 offset:32
	s_waitcnt lgkmcnt(1)
	v_and_b32_e32 v35, 0xffff, v30
	s_and_saveexec_b64 s[34:35], s[8:9]
	s_cbranch_execz .LBB1_106
; %bb.105:                              ;   in Loop: Header=BB1_79 Depth=1
	ds_read_u16 v30, v59
	s_waitcnt lgkmcnt(0)
	v_perm_b32 v35, v30, v35, s70
.LBB1_106:                              ;   in Loop: Header=BB1_79 Depth=1
	s_or_b64 exec, exec, s[34:35]
.LBB1_107:                              ;   in Loop: Header=BB1_79 Depth=1
	s_or_b64 exec, exec, s[4:5]
	s_waitcnt lgkmcnt(0)
	v_mfma_f32_16x16x16bf16_1k v[18:21], v[24:25], v[34:35], v[18:21]
	v_mov_b32_e32 v32, 0
	v_mov_b32_e32 v36, 0
	;; [unrolled: 1-line block ×3, first 2 shown]
	s_and_saveexec_b64 s[4:5], s[6:7]
	s_cbranch_execz .LBB1_111
; %bb.108:                              ;   in Loop: Header=BB1_79 Depth=1
	ds_read_u16 v30, v57 offset:68
	ds_read_b32 v36, v57 offset:64
	s_waitcnt lgkmcnt(1)
	v_and_b32_e32 v37, 0xffff, v30
	s_and_saveexec_b64 s[34:35], s[8:9]
	s_cbranch_execz .LBB1_110
; %bb.109:                              ;   in Loop: Header=BB1_79 Depth=1
	ds_read_u16 v30, v60
	s_waitcnt lgkmcnt(0)
	v_perm_b32 v37, v30, v37, s70
.LBB1_110:                              ;   in Loop: Header=BB1_79 Depth=1
	s_or_b64 exec, exec, s[34:35]
.LBB1_111:                              ;   in Loop: Header=BB1_79 Depth=1
	s_or_b64 exec, exec, s[4:5]
	s_waitcnt lgkmcnt(0)
	v_mfma_f32_16x16x16bf16_1k v[18:21], v[26:27], v[36:37], v[18:21]
	s_mov_b64 s[34:35], -1
	s_mov_b64 s[36:37], -1
	v_mov_b32_e32 v33, 0
	s_and_saveexec_b64 s[4:5], s[6:7]
	s_cbranch_execz .LBB1_115
; %bb.112:                              ;   in Loop: Header=BB1_79 Depth=1
	ds_read_u16 v30, v57 offset:100
	ds_read_b32 v32, v57 offset:96
	s_waitcnt lgkmcnt(1)
	v_and_b32_e32 v33, 0xffff, v30
	s_and_saveexec_b64 s[34:35], s[8:9]
	s_cbranch_execz .LBB1_114
; %bb.113:                              ;   in Loop: Header=BB1_79 Depth=1
	ds_read_u16 v30, v61
	s_waitcnt lgkmcnt(0)
	v_perm_b32 v33, v30, v33, s70
.LBB1_114:                              ;   in Loop: Header=BB1_79 Depth=1
	s_or_b64 exec, exec, s[34:35]
	s_orn2_b64 s[36:37], s[16:17], exec
	s_orn2_b64 s[34:35], s[12:13], exec
.LBB1_115:                              ;   in Loop: Header=BB1_79 Depth=1
	s_or_b64 exec, exec, s[4:5]
	s_waitcnt lgkmcnt(0)
	v_mfma_f32_16x16x16bf16_1k v[18:21], v[28:29], v[32:33], v[18:21]
	s_or_b64 s[4:5], s[26:27], s[10:11]
	s_nop 7
	s_nop 1
	v_cndmask_b32_e64 v32, v18, v84, s[4:5]
	v_cndmask_b32_e64 v18, v20, v84, s[36:37]
	ds_bpermute_b32 v20, v62, v32
	v_cndmask_b32_e64 v19, v19, v84, s[34:35]
	s_or_b64 s[34:35], s[26:27], s[20:21]
	v_cndmask_b32_e64 v30, v21, v84, s[34:35]
	v_max_f32_e32 v21, v32, v32
	s_waitcnt lgkmcnt(0)
	v_max_f32_e32 v20, v20, v20
	v_max_f32_e32 v20, v21, v20
	ds_bpermute_b32 v21, v63, v20
	ds_bpermute_b32 v33, v62, v19
	v_max_f32_e32 v34, v19, v19
	ds_bpermute_b32 v35, v62, v18
	ds_bpermute_b32 v37, v62, v30
	s_waitcnt lgkmcnt(3)
	v_max_f32_e32 v21, v21, v21
	v_max_f32_e32 v20, v20, v21
	ds_bpermute_b32 v21, v64, v20
	s_waitcnt lgkmcnt(3)
	v_max_f32_e32 v33, v33, v33
	v_max_f32_e32 v33, v34, v33
	ds_bpermute_b32 v34, v63, v33
	v_max_f32_e32 v36, v18, v18
	s_waitcnt lgkmcnt(1)
	v_max_f32_e32 v21, v21, v21
	v_max_f32_e32 v20, v20, v21
	ds_bpermute_b32 v21, v65, v20
	s_waitcnt lgkmcnt(1)
	v_max_f32_e32 v34, v34, v34
	v_max_f32_e32 v35, v35, v35
	;; [unrolled: 1-line block ×4, first 2 shown]
	s_waitcnt lgkmcnt(0)
	v_max_f32_e32 v21, v21, v21
	ds_bpermute_b32 v34, v64, v33
	v_max_f32_e32 v20, v20, v21
	v_max_f32_e32 v21, v30, v30
	;; [unrolled: 1-line block ×3, first 2 shown]
	ds_bpermute_b32 v36, v63, v35
	v_max_f32_e32 v21, v21, v37
	ds_bpermute_b32 v37, v63, v21
	s_waitcnt lgkmcnt(2)
	v_max_f32_e32 v34, v34, v34
	v_max_f32_e32 v33, v33, v34
	s_waitcnt lgkmcnt(1)
	v_max_f32_e32 v36, v36, v36
	ds_bpermute_b32 v34, v65, v33
	v_max_f32_e32 v35, v35, v36
	s_waitcnt lgkmcnt(1)
	v_max_f32_e32 v37, v37, v37
	ds_bpermute_b32 v36, v64, v35
	v_max_f32_e32 v21, v21, v37
	ds_bpermute_b32 v37, v64, v21
	s_waitcnt lgkmcnt(2)
	v_max_f32_e32 v34, v34, v34
	v_max_f32_e32 v33, v33, v34
	s_waitcnt lgkmcnt(1)
	v_max_f32_e32 v34, v36, v36
	v_max_f32_e32 v35, v35, v34
	s_waitcnt lgkmcnt(0)
	v_max_f32_e32 v34, v37, v37
	ds_bpermute_b32 v36, v65, v35
	v_max_f32_e32 v21, v21, v34
	ds_bpermute_b32 v37, v65, v21
	ds_bpermute_b32 v34, v47, v33
	;; [unrolled: 1-line block ×3, first 2 shown]
	s_waitcnt lgkmcnt(3)
	v_max_f32_e32 v33, v36, v36
	v_max_f32_e32 v33, v35, v33
	s_waitcnt lgkmcnt(2)
	v_max_f32_e32 v35, v37, v37
	v_max_f32_e32 v21, v21, v35
	ds_bpermute_b32 v33, v47, v33
	ds_bpermute_b32 v21, v47, v21
	s_and_saveexec_b64 s[36:37], s[28:29]
	s_cbranch_execz .LBB1_118
; %bb.116:                              ;   in Loop: Header=BB1_79 Depth=1
	ds_read_b96 v[86:88], v80
	s_waitcnt lgkmcnt(4)
	v_max_f32_e32 v34, v34, v34
	s_waitcnt lgkmcnt(3)
	v_max_f32_e32 v20, v20, v20
	;; [unrolled: 2-line block ×3, first 2 shown]
	v_max_f32_e32 v36, v86, v86
	v_max_f32_e32 v35, v35, v34
	;; [unrolled: 1-line block ×6, first 2 shown]
	ds_write_b96 v66, v[86:88]
	ds_write_b96 v80, v[34:36]
	s_and_b64 exec, exec, s[24:25]
	s_cbranch_execz .LBB1_118
; %bb.117:                              ;   in Loop: Header=BB1_79 Depth=1
	ds_read_b32 v20, v68
	v_max_f32_e32 v21, v21, v21
	s_waitcnt lgkmcnt(0)
	ds_write_b32 v67, v20
	v_max_f32_e32 v20, v20, v20
	v_max_f32_e32 v20, v20, v21
	ds_write_b32 v68, v20
.LBB1_118:                              ;   in Loop: Header=BB1_79 Depth=1
	s_or_b64 exec, exec, s[36:37]
	s_waitcnt lgkmcnt(2)
	v_mov_b32_e32 v20, 0
	s_waitcnt lgkmcnt(0)
	v_mov_b32_e32 v21, 0
	s_barrier
	s_and_saveexec_b64 s[36:37], s[6:7]
	s_cbranch_execz .LBB1_120
; %bb.119:                              ;   in Loop: Header=BB1_79 Depth=1
	ds_read_b32 v21, v80
	s_waitcnt lgkmcnt(0)
	v_sub_f32_e32 v32, v32, v21
	v_mul_f32_e32 v32, 0x3fb8aa3b, v32
	v_exp_f32_e32 v32, v32
	v_cmp_lg_f32_e32 vcc, s71, v21
	s_and_b64 vcc, s[30:31], vcc
	v_cndmask_b32_e32 v21, 0, v32, vcc
.LBB1_120:                              ;   in Loop: Header=BB1_79 Depth=1
	s_or_b64 exec, exec, s[36:37]
	ds_bpermute_b32 v32, v62, v21
	s_waitcnt lgkmcnt(0)
	v_add_f32_e32 v32, v21, v32
	ds_bpermute_b32 v33, v63, v32
	s_waitcnt lgkmcnt(0)
	v_add_f32_e32 v32, v32, v33
	;; [unrolled: 3-line block ×4, first 2 shown]
	ds_bpermute_b32 v34, v47, v32
	s_and_saveexec_b64 s[36:37], s[6:7]
	s_cbranch_execz .LBB1_122
; %bb.121:                              ;   in Loop: Header=BB1_79 Depth=1
	ds_read_b32 v20, v80 offset:4
	s_waitcnt lgkmcnt(0)
	v_sub_f32_e32 v19, v19, v20
	v_mul_f32_e32 v19, 0x3fb8aa3b, v19
	v_exp_f32_e32 v19, v19
	v_cmp_lg_f32_e32 vcc, s71, v20
	s_and_b64 vcc, s[14:15], vcc
	v_cndmask_b32_e32 v20, 0, v19, vcc
.LBB1_122:                              ;   in Loop: Header=BB1_79 Depth=1
	s_or_b64 exec, exec, s[36:37]
	ds_bpermute_b32 v19, v62, v20
	s_waitcnt lgkmcnt(0)
	v_add_f32_e32 v19, v20, v19
	ds_bpermute_b32 v32, v63, v19
	s_waitcnt lgkmcnt(0)
	v_add_f32_e32 v19, v19, v32
	;; [unrolled: 3-line block ×4, first 2 shown]
	ds_bpermute_b32 v33, v47, v19
	v_mov_b32_e32 v19, 0
	s_and_saveexec_b64 s[36:37], s[6:7]
	s_cbranch_execz .LBB1_124
; %bb.123:                              ;   in Loop: Header=BB1_79 Depth=1
	ds_read_b32 v19, v80 offset:8
	s_waitcnt lgkmcnt(0)
	v_sub_f32_e32 v18, v18, v19
	v_mul_f32_e32 v18, 0x3fb8aa3b, v18
	v_exp_f32_e32 v18, v18
	v_cmp_lg_f32_e32 vcc, s71, v19
	s_and_b64 vcc, s[18:19], vcc
	v_cndmask_b32_e32 v19, 0, v18, vcc
.LBB1_124:                              ;   in Loop: Header=BB1_79 Depth=1
	s_or_b64 exec, exec, s[36:37]
	ds_bpermute_b32 v18, v62, v19
	v_mov_b32_e32 v35, 0xff800000
	s_waitcnt lgkmcnt(0)
	v_add_f32_e32 v18, v19, v18
	ds_bpermute_b32 v32, v63, v18
	s_waitcnt lgkmcnt(0)
	v_add_f32_e32 v18, v18, v32
	ds_bpermute_b32 v32, v64, v18
	;; [unrolled: 3-line block ×4, first 2 shown]
	s_and_saveexec_b64 s[36:37], s[24:25]
	s_cbranch_execz .LBB1_126
; %bb.125:                              ;   in Loop: Header=BB1_79 Depth=1
	ds_read_b32 v35, v68
.LBB1_126:                              ;   in Loop: Header=BB1_79 Depth=1
	s_or_b64 exec, exec, s[36:37]
	v_mov_b32_e32 v18, 0
	s_and_saveexec_b64 s[36:37], s[6:7]
	s_cbranch_execz .LBB1_128
; %bb.127:                              ;   in Loop: Header=BB1_79 Depth=1
	s_waitcnt lgkmcnt(0)
	v_sub_f32_e32 v18, v30, v35
	v_mul_f32_e32 v18, 0x3fb8aa3b, v18
	v_exp_f32_e32 v18, v18
	v_cmp_lg_f32_e32 vcc, s71, v35
	s_and_b64 vcc, s[22:23], vcc
	v_cndmask_b32_e32 v18, 0, v18, vcc
.LBB1_128:                              ;   in Loop: Header=BB1_79 Depth=1
	s_or_b64 exec, exec, s[36:37]
	ds_bpermute_b32 v30, v62, v18
	s_waitcnt lgkmcnt(0)
	v_add_f32_e32 v30, v18, v30
	ds_bpermute_b32 v35, v63, v30
	s_waitcnt lgkmcnt(0)
	v_add_f32_e32 v30, v30, v35
	;; [unrolled: 3-line block ×4, first 2 shown]
	ds_bpermute_b32 v30, v47, v30
	s_and_saveexec_b64 s[36:37], s[28:29]
	s_cbranch_execz .LBB1_155
; %bb.129:                              ;   in Loop: Header=BB1_79 Depth=1
	s_and_saveexec_b64 s[6:7], s[10:11]
	s_xor_b64 s[6:7], exec, s[6:7]
	s_cbranch_execnz .LBB1_137
; %bb.130:                              ;   in Loop: Header=BB1_79 Depth=1
	s_andn2_saveexec_b64 s[58:59], s[6:7]
	s_cbranch_execnz .LBB1_138
.LBB1_131:                              ;   in Loop: Header=BB1_79 Depth=1
	s_or_b64 exec, exec, s[58:59]
	s_and_saveexec_b64 s[6:7], s[12:13]
	s_xor_b64 s[6:7], exec, s[6:7]
	s_cbranch_execnz .LBB1_141
.LBB1_132:                              ;   in Loop: Header=BB1_79 Depth=1
	s_andn2_saveexec_b64 s[58:59], s[6:7]
	s_cbranch_execnz .LBB1_142
.LBB1_133:                              ;   in Loop: Header=BB1_79 Depth=1
	s_or_b64 exec, exec, s[58:59]
	s_and_saveexec_b64 s[6:7], s[16:17]
	s_xor_b64 s[6:7], exec, s[6:7]
	s_cbranch_execnz .LBB1_145
.LBB1_134:                              ;   in Loop: Header=BB1_79 Depth=1
	s_andn2_saveexec_b64 s[58:59], s[6:7]
	s_cbranch_execnz .LBB1_146
.LBB1_135:                              ;   in Loop: Header=BB1_79 Depth=1
	s_or_b64 exec, exec, s[58:59]
	s_and_saveexec_b64 s[6:7], s[20:21]
	s_xor_b64 s[6:7], exec, s[6:7]
	s_cbranch_execnz .LBB1_149
.LBB1_136:                              ;   in Loop: Header=BB1_79 Depth=1
	s_andn2_saveexec_b64 s[6:7], s[6:7]
	s_cbranch_execnz .LBB1_152
	s_branch .LBB1_155
.LBB1_137:                              ;   in Loop: Header=BB1_79 Depth=1
	ds_write_b32 v82, v31
	ds_write_b32 v81, v31
                                        ; implicit-def: $vgpr34
	s_andn2_saveexec_b64 s[58:59], s[6:7]
	s_cbranch_execz .LBB1_131
.LBB1_138:                              ;   in Loop: Header=BB1_79 Depth=1
	ds_read_b32 v37, v66
	ds_read_b32 v35, v83
	v_mov_b32_e32 v36, 0
	s_waitcnt lgkmcnt(1)
	v_cmp_neq_f32_e32 vcc, s71, v37
	s_and_saveexec_b64 s[6:7], vcc
	s_cbranch_execz .LBB1_140
; %bb.139:                              ;   in Loop: Header=BB1_79 Depth=1
	ds_read_b32 v36, v80
	s_waitcnt lgkmcnt(0)
	v_sub_f32_e32 v36, v37, v36
	v_mul_f32_e32 v36, 0x3fb8aa3b, v36
	v_exp_f32_e32 v36, v36
.LBB1_140:                              ;   in Loop: Header=BB1_79 Depth=1
	s_or_b64 exec, exec, s[6:7]
	s_waitcnt lgkmcnt(0)
	v_mul_f32_e32 v37, v35, v36
	v_fmac_f32_e32 v34, v35, v36
	v_div_scale_f32 v35, s[6:7], v34, v34, v37
	v_rcp_f32_e32 v36, v35
	v_fma_f32 v85, -v35, v36, 1.0
	v_fmac_f32_e32 v36, v85, v36
	v_div_scale_f32 v85, vcc, v37, v34, v37
	v_mul_f32_e32 v86, v85, v36
	v_fma_f32 v87, -v35, v86, v85
	v_fmac_f32_e32 v86, v87, v36
	v_fma_f32 v35, -v35, v86, v85
	v_div_fmas_f32 v35, v35, v36, v86
	v_div_scale_f32 v36, s[6:7], v34, v34, 1.0
	v_rcp_f32_e32 v85, v36
	v_div_fixup_f32 v35, v35, v34, v37
	v_cmp_lt_f32_e64 s[6:7], 0, v34
	v_cndmask_b32_e64 v35, 0, v35, s[6:7]
	v_fma_f32 v37, -v36, v85, 1.0
	v_fmac_f32_e32 v85, v37, v85
	v_div_scale_f32 v37, vcc, 1.0, v34, 1.0
	v_mul_f32_e32 v86, v37, v85
	v_fma_f32 v87, -v36, v86, v37
	v_fmac_f32_e32 v86, v87, v85
	v_fma_f32 v36, -v36, v86, v37
	v_div_fmas_f32 v36, v36, v85, v86
	v_div_fixup_f32 v36, v36, v34, 1.0
	v_cndmask_b32_e64 v36, 0, v36, s[6:7]
	ds_write_b32 v82, v35
	ds_write_b32 v81, v36
	;; [unrolled: 1-line block ×3, first 2 shown]
	s_or_b64 exec, exec, s[58:59]
	s_and_saveexec_b64 s[6:7], s[12:13]
	s_xor_b64 s[6:7], exec, s[6:7]
	s_cbranch_execz .LBB1_132
.LBB1_141:                              ;   in Loop: Header=BB1_79 Depth=1
	ds_write_b32 v82, v31 offset:4
	ds_write_b32 v81, v31 offset:4
                                        ; implicit-def: $vgpr33
	s_andn2_saveexec_b64 s[58:59], s[6:7]
	s_cbranch_execz .LBB1_133
.LBB1_142:                              ;   in Loop: Header=BB1_79 Depth=1
	ds_read_b32 v36, v66 offset:4
	ds_read_b32 v34, v83 offset:4
	v_mov_b32_e32 v35, 0
	s_waitcnt lgkmcnt(1)
	v_cmp_neq_f32_e32 vcc, s71, v36
	s_and_saveexec_b64 s[6:7], vcc
	s_cbranch_execz .LBB1_144
; %bb.143:                              ;   in Loop: Header=BB1_79 Depth=1
	ds_read_b32 v35, v80 offset:4
	s_waitcnt lgkmcnt(0)
	v_sub_f32_e32 v35, v36, v35
	v_mul_f32_e32 v35, 0x3fb8aa3b, v35
	v_exp_f32_e32 v35, v35
.LBB1_144:                              ;   in Loop: Header=BB1_79 Depth=1
	s_or_b64 exec, exec, s[6:7]
	s_waitcnt lgkmcnt(0)
	v_mul_f32_e32 v36, v34, v35
	v_fmac_f32_e32 v33, v34, v35
	v_div_scale_f32 v34, s[6:7], v33, v33, v36
	v_rcp_f32_e32 v35, v34
	v_fma_f32 v37, -v34, v35, 1.0
	v_fmac_f32_e32 v35, v37, v35
	v_div_scale_f32 v37, vcc, v36, v33, v36
	v_mul_f32_e32 v85, v37, v35
	v_fma_f32 v86, -v34, v85, v37
	v_fmac_f32_e32 v85, v86, v35
	v_fma_f32 v34, -v34, v85, v37
	v_div_fmas_f32 v34, v34, v35, v85
	v_div_scale_f32 v35, s[6:7], v33, v33, 1.0
	v_rcp_f32_e32 v37, v35
	v_div_fixup_f32 v34, v34, v33, v36
	v_cmp_lt_f32_e64 s[6:7], 0, v33
	v_cndmask_b32_e64 v34, 0, v34, s[6:7]
	v_fma_f32 v36, -v35, v37, 1.0
	v_fmac_f32_e32 v37, v36, v37
	v_div_scale_f32 v36, vcc, 1.0, v33, 1.0
	v_mul_f32_e32 v85, v36, v37
	v_fma_f32 v86, -v35, v85, v36
	v_fmac_f32_e32 v85, v86, v37
	v_fma_f32 v35, -v35, v85, v36
	v_div_fmas_f32 v35, v35, v37, v85
	v_div_fixup_f32 v35, v35, v33, 1.0
	v_cndmask_b32_e64 v35, 0, v35, s[6:7]
	ds_write_b32 v82, v34 offset:4
	ds_write_b32 v81, v35 offset:4
	;; [unrolled: 1-line block ×3, first 2 shown]
	s_or_b64 exec, exec, s[58:59]
	s_and_saveexec_b64 s[6:7], s[16:17]
	s_xor_b64 s[6:7], exec, s[6:7]
	s_cbranch_execz .LBB1_134
.LBB1_145:                              ;   in Loop: Header=BB1_79 Depth=1
	ds_write_b32 v82, v31 offset:8
	ds_write_b32 v81, v31 offset:8
                                        ; implicit-def: $vgpr32
	s_andn2_saveexec_b64 s[58:59], s[6:7]
	s_cbranch_execz .LBB1_135
.LBB1_146:                              ;   in Loop: Header=BB1_79 Depth=1
	ds_read_b32 v35, v66 offset:8
	ds_read_b32 v33, v83 offset:8
	v_mov_b32_e32 v34, 0
	s_waitcnt lgkmcnt(1)
	v_cmp_neq_f32_e32 vcc, s71, v35
	s_and_saveexec_b64 s[6:7], vcc
	s_cbranch_execz .LBB1_148
; %bb.147:                              ;   in Loop: Header=BB1_79 Depth=1
	ds_read_b32 v34, v80 offset:8
	s_waitcnt lgkmcnt(0)
	v_sub_f32_e32 v34, v35, v34
	v_mul_f32_e32 v34, 0x3fb8aa3b, v34
	v_exp_f32_e32 v34, v34
.LBB1_148:                              ;   in Loop: Header=BB1_79 Depth=1
	s_or_b64 exec, exec, s[6:7]
	s_waitcnt lgkmcnt(0)
	v_mul_f32_e32 v35, v33, v34
	v_fmac_f32_e32 v32, v33, v34
	v_div_scale_f32 v33, s[6:7], v32, v32, v35
	v_rcp_f32_e32 v34, v33
	v_fma_f32 v36, -v33, v34, 1.0
	v_fmac_f32_e32 v34, v36, v34
	v_div_scale_f32 v36, vcc, v35, v32, v35
	v_mul_f32_e32 v37, v36, v34
	v_fma_f32 v85, -v33, v37, v36
	v_fmac_f32_e32 v37, v85, v34
	v_fma_f32 v33, -v33, v37, v36
	v_div_fmas_f32 v33, v33, v34, v37
	v_div_scale_f32 v34, s[6:7], v32, v32, 1.0
	v_rcp_f32_e32 v36, v34
	v_div_fixup_f32 v33, v33, v32, v35
	v_cmp_lt_f32_e64 s[6:7], 0, v32
	v_cndmask_b32_e64 v33, 0, v33, s[6:7]
	v_fma_f32 v35, -v34, v36, 1.0
	v_fmac_f32_e32 v36, v35, v36
	v_div_scale_f32 v35, vcc, 1.0, v32, 1.0
	v_mul_f32_e32 v37, v35, v36
	v_fma_f32 v85, -v34, v37, v35
	v_fmac_f32_e32 v37, v85, v36
	v_fma_f32 v34, -v34, v37, v35
	v_div_fmas_f32 v34, v34, v36, v37
	v_div_fixup_f32 v34, v34, v32, 1.0
	v_cndmask_b32_e64 v34, 0, v34, s[6:7]
	ds_write_b32 v82, v33 offset:8
	ds_write_b32 v81, v34 offset:8
	;; [unrolled: 1-line block ×3, first 2 shown]
	s_or_b64 exec, exec, s[58:59]
	s_and_saveexec_b64 s[6:7], s[20:21]
	s_xor_b64 s[6:7], exec, s[6:7]
	s_cbranch_execz .LBB1_136
.LBB1_149:                              ;   in Loop: Header=BB1_79 Depth=1
	s_and_saveexec_b64 s[58:59], s[24:25]
	s_cbranch_execz .LBB1_151
; %bb.150:                              ;   in Loop: Header=BB1_79 Depth=1
	ds_write_b32 v70, v31
	ds_write_b32 v69, v31
.LBB1_151:                              ;   in Loop: Header=BB1_79 Depth=1
	s_or_b64 exec, exec, s[58:59]
                                        ; implicit-def: $vgpr30
	s_andn2_saveexec_b64 s[6:7], s[6:7]
	s_cbranch_execz .LBB1_155
.LBB1_152:                              ;   in Loop: Header=BB1_79 Depth=1
	ds_read_b32 v34, v67
	ds_read_b32 v32, v71
	v_mov_b32_e32 v33, 0
	s_waitcnt lgkmcnt(1)
	v_cmp_neq_f32_e32 vcc, s71, v34
	s_and_saveexec_b64 s[6:7], vcc
	s_cbranch_execz .LBB1_154
; %bb.153:                              ;   in Loop: Header=BB1_79 Depth=1
	ds_read_b32 v33, v68
	s_waitcnt lgkmcnt(0)
	v_sub_f32_e32 v33, v34, v33
	v_mul_f32_e32 v33, 0x3fb8aa3b, v33
	v_exp_f32_e32 v33, v33
.LBB1_154:                              ;   in Loop: Header=BB1_79 Depth=1
	s_or_b64 exec, exec, s[6:7]
	s_waitcnt lgkmcnt(0)
	v_mul_f32_e32 v34, v32, v33
	v_fmac_f32_e32 v30, v32, v33
	v_div_scale_f32 v32, s[6:7], v30, v30, v34
	v_rcp_f32_e32 v33, v32
	v_fma_f32 v35, -v32, v33, 1.0
	v_fmac_f32_e32 v33, v35, v33
	v_div_scale_f32 v35, vcc, v34, v30, v34
	v_mul_f32_e32 v36, v35, v33
	v_fma_f32 v37, -v32, v36, v35
	v_fmac_f32_e32 v36, v37, v33
	v_fma_f32 v32, -v32, v36, v35
	v_div_fmas_f32 v32, v32, v33, v36
	v_div_scale_f32 v33, s[6:7], v30, v30, 1.0
	v_rcp_f32_e32 v35, v33
	v_div_fixup_f32 v32, v32, v30, v34
	v_cmp_lt_f32_e64 s[6:7], 0, v30
	v_cndmask_b32_e64 v32, 0, v32, s[6:7]
	v_fma_f32 v34, -v33, v35, 1.0
	v_fmac_f32_e32 v35, v34, v35
	v_div_scale_f32 v34, vcc, 1.0, v30, 1.0
	v_mul_f32_e32 v36, v34, v35
	v_fma_f32 v37, -v33, v36, v34
	v_fmac_f32_e32 v36, v37, v35
	v_fma_f32 v33, -v33, v36, v34
	v_div_fmas_f32 v33, v33, v35, v36
	v_div_fixup_f32 v33, v33, v30, 1.0
	v_cndmask_b32_e64 v33, 0, v33, s[6:7]
	ds_write_b32 v70, v32
	ds_write_b32 v69, v33
	;; [unrolled: 1-line block ×3, first 2 shown]
.LBB1_155:                              ;   in Loop: Header=BB1_79 Depth=1
	s_or_b64 exec, exec, s[36:37]
	s_xor_b64 s[6:7], s[4:5], -1
	s_xor_b64 s[4:5], s[34:35], -1
	s_waitcnt lgkmcnt(0)
	v_mov_b32_e32 v30, 0
	v_mov_b32_e32 v85, 0
	s_barrier
	s_and_saveexec_b64 s[34:35], s[30:31]
	s_cbranch_execz .LBB1_157
; %bb.156:                              ;   in Loop: Header=BB1_79 Depth=1
	ds_read_b32 v85, v82
.LBB1_157:                              ;   in Loop: Header=BB1_79 Depth=1
	s_or_b64 exec, exec, s[34:35]
	s_and_saveexec_b64 s[34:35], s[6:7]
	s_cbranch_execz .LBB1_159
; %bb.158:                              ;   in Loop: Header=BB1_79 Depth=1
	ds_read_b32 v30, v81
	s_waitcnt lgkmcnt(0)
	v_mul_f32_e32 v30, v21, v30
.LBB1_159:                              ;   in Loop: Header=BB1_79 Depth=1
	s_or_b64 exec, exec, s[34:35]
	v_and_b32_e32 v21, 0x7f800000, v30
	v_cmp_ne_u32_e32 vcc, s72, v21
                                        ; implicit-def: $vgpr21
	s_and_saveexec_b64 s[6:7], vcc
	s_xor_b64 s[6:7], exec, s[6:7]
; %bb.160:                              ;   in Loop: Header=BB1_79 Depth=1
	v_bfe_u32 v21, v30, 16, 1
	v_add3_u32 v21, v30, v21, s73
                                        ; implicit-def: $vgpr30
; %bb.161:                              ;   in Loop: Header=BB1_79 Depth=1
	s_andn2_saveexec_b64 s[6:7], s[6:7]
; %bb.162:                              ;   in Loop: Header=BB1_79 Depth=1
	v_or_b32_e32 v21, 0x10000, v30
	v_cmp_eq_u32_sdwa vcc, v30, v78 src0_sel:WORD_0 src1_sel:DWORD
	v_cndmask_b32_e32 v21, v21, v30, vcc
; %bb.163:                              ;   in Loop: Header=BB1_79 Depth=1
	s_or_b64 exec, exec, s[6:7]
	ds_write_b16_d16_hi v72, v21
	v_mov_b32_e32 v21, 0
	v_mov_b32_e32 v86, 0
	s_and_saveexec_b64 s[6:7], s[14:15]
	s_cbranch_execz .LBB1_165
; %bb.164:                              ;   in Loop: Header=BB1_79 Depth=1
	ds_read_b32 v86, v82 offset:4
.LBB1_165:                              ;   in Loop: Header=BB1_79 Depth=1
	s_or_b64 exec, exec, s[6:7]
	s_or_b64 s[6:7], s[26:27], s[12:13]
	s_xor_b64 s[34:35], s[6:7], -1
	s_and_saveexec_b64 s[6:7], s[34:35]
	s_cbranch_execz .LBB1_167
; %bb.166:                              ;   in Loop: Header=BB1_79 Depth=1
	ds_read_b32 v21, v81 offset:4
	s_waitcnt lgkmcnt(0)
	v_mul_f32_e32 v21, v20, v21
.LBB1_167:                              ;   in Loop: Header=BB1_79 Depth=1
	s_or_b64 exec, exec, s[6:7]
	v_and_b32_e32 v20, 0x7f800000, v21
	v_cmp_ne_u32_e32 vcc, s72, v20
                                        ; implicit-def: $vgpr20
	s_and_saveexec_b64 s[6:7], vcc
	s_xor_b64 s[6:7], exec, s[6:7]
; %bb.168:                              ;   in Loop: Header=BB1_79 Depth=1
	v_bfe_u32 v20, v21, 16, 1
	v_add3_u32 v20, v21, v20, s73
                                        ; implicit-def: $vgpr21
; %bb.169:                              ;   in Loop: Header=BB1_79 Depth=1
	s_andn2_saveexec_b64 s[6:7], s[6:7]
; %bb.170:                              ;   in Loop: Header=BB1_79 Depth=1
	v_or_b32_e32 v20, 0x10000, v21
	v_cmp_eq_u32_sdwa vcc, v21, v78 src0_sel:WORD_0 src1_sel:DWORD
	v_cndmask_b32_e32 v20, v20, v21, vcc
; %bb.171:                              ;   in Loop: Header=BB1_79 Depth=1
	s_or_b64 exec, exec, s[6:7]
	ds_write_b16_d16_hi v72, v20 offset:32
	v_mov_b32_e32 v20, 0
	v_mov_b32_e32 v87, 0
	s_and_saveexec_b64 s[6:7], s[18:19]
	s_cbranch_execz .LBB1_173
; %bb.172:                              ;   in Loop: Header=BB1_79 Depth=1
	ds_read_b32 v87, v82 offset:8
.LBB1_173:                              ;   in Loop: Header=BB1_79 Depth=1
	s_or_b64 exec, exec, s[6:7]
	s_or_b64 s[6:7], s[26:27], s[16:17]
	s_xor_b64 s[26:27], s[6:7], -1
	s_and_saveexec_b64 s[6:7], s[26:27]
	s_cbranch_execz .LBB1_175
; %bb.174:                              ;   in Loop: Header=BB1_79 Depth=1
	ds_read_b32 v20, v81 offset:8
	s_waitcnt lgkmcnt(0)
	v_mul_f32_e32 v20, v19, v20
.LBB1_175:                              ;   in Loop: Header=BB1_79 Depth=1
	s_or_b64 exec, exec, s[6:7]
	v_and_b32_e32 v19, 0x7f800000, v20
	v_cmp_ne_u32_e32 vcc, s72, v19
                                        ; implicit-def: $vgpr19
	s_and_saveexec_b64 s[6:7], vcc
	s_xor_b64 s[6:7], exec, s[6:7]
; %bb.176:                              ;   in Loop: Header=BB1_79 Depth=1
	v_bfe_u32 v19, v20, 16, 1
	v_add3_u32 v19, v20, v19, s73
                                        ; implicit-def: $vgpr20
; %bb.177:                              ;   in Loop: Header=BB1_79 Depth=1
	s_andn2_saveexec_b64 s[6:7], s[6:7]
; %bb.178:                              ;   in Loop: Header=BB1_79 Depth=1
	v_or_b32_e32 v19, 0x10000, v20
	v_cmp_eq_u32_sdwa vcc, v20, v78 src0_sel:WORD_0 src1_sel:DWORD
	v_cndmask_b32_e32 v19, v19, v20, vcc
; %bb.179:                              ;   in Loop: Header=BB1_79 Depth=1
	s_or_b64 exec, exec, s[6:7]
	ds_write_b16_d16_hi v72, v19 offset:64
	v_mov_b32_e32 v19, 0
	v_mov_b32_e32 v88, 0
	s_and_saveexec_b64 s[6:7], s[22:23]
	s_cbranch_execnz .LBB1_182
; %bb.180:                              ;   in Loop: Header=BB1_79 Depth=1
	s_or_b64 exec, exec, s[6:7]
	s_and_saveexec_b64 s[6:7], s[4:5]
	s_cbranch_execnz .LBB1_183
.LBB1_181:                              ;   in Loop: Header=BB1_79 Depth=1
	s_or_b64 exec, exec, s[6:7]
	s_and_saveexec_b64 s[4:5], s[24:25]
	s_cbranch_execnz .LBB1_184
	s_branch .LBB1_189
.LBB1_182:                              ;   in Loop: Header=BB1_79 Depth=1
	ds_read_b32 v88, v70
	s_or_b64 exec, exec, s[6:7]
	s_and_saveexec_b64 s[6:7], s[4:5]
	s_cbranch_execz .LBB1_181
.LBB1_183:                              ;   in Loop: Header=BB1_79 Depth=1
	ds_read_b32 v19, v69
	s_waitcnt lgkmcnt(0)
	v_mul_f32_e32 v19, v18, v19
	s_or_b64 exec, exec, s[6:7]
	s_and_saveexec_b64 s[4:5], s[24:25]
	s_cbranch_execz .LBB1_189
.LBB1_184:                              ;   in Loop: Header=BB1_79 Depth=1
	v_and_b32_e32 v18, 0x7f800000, v19
	v_cmp_ne_u32_e32 vcc, s72, v18
                                        ; implicit-def: $vgpr18
	s_and_saveexec_b64 s[6:7], vcc
	s_xor_b64 s[6:7], exec, s[6:7]
; %bb.185:                              ;   in Loop: Header=BB1_79 Depth=1
	v_bfe_u32 v18, v19, 16, 1
	v_add3_u32 v18, v19, v18, s73
                                        ; implicit-def: $vgpr19
; %bb.186:                              ;   in Loop: Header=BB1_79 Depth=1
	s_andn2_saveexec_b64 s[6:7], s[6:7]
; %bb.187:                              ;   in Loop: Header=BB1_79 Depth=1
	v_or_b32_e32 v18, 0x10000, v19
	v_cmp_eq_u32_sdwa vcc, v19, v78 src0_sel:WORD_0 src1_sel:DWORD
	v_cndmask_b32_e32 v18, v18, v19, vcc
; %bb.188:                              ;   in Loop: Header=BB1_79 Depth=1
	s_or_b64 exec, exec, s[6:7]
	ds_write_b16_d16_hi v73, v18
.LBB1_189:                              ;   in Loop: Header=BB1_79 Depth=1
	s_or_b64 exec, exec, s[4:5]
	s_mov_b32 s45, s44
	v_pk_mov_b32 v[18:19], s[44:45], s[44:45] op_sel:[0,1]
	s_waitcnt lgkmcnt(0)
	s_barrier
	s_and_saveexec_b64 s[4:5], s[2:3]
	s_cbranch_execz .LBB1_196
; %bb.190:                              ;   in Loop: Header=BB1_79 Depth=1
	v_cmp_gt_i32_e32 vcc, s77, v39
	v_pk_mov_b32 v[18:19], s[44:45], s[44:45] op_sel:[0,1]
	s_and_saveexec_b64 s[6:7], vcc
	s_cbranch_execnz .LBB1_228
; %bb.191:                              ;   in Loop: Header=BB1_79 Depth=1
	s_or_b64 exec, exec, s[6:7]
	v_cmp_gt_i32_e32 vcc, s78, v44
	s_and_saveexec_b64 s[6:7], vcc
	s_cbranch_execnz .LBB1_229
.LBB1_192:                              ;   in Loop: Header=BB1_79 Depth=1
	s_or_b64 exec, exec, s[6:7]
	v_cmp_gt_i32_e32 vcc, s78, v43
	s_and_saveexec_b64 s[6:7], vcc
	s_cbranch_execnz .LBB1_230
.LBB1_193:                              ;   in Loop: Header=BB1_79 Depth=1
	s_or_b64 exec, exec, s[6:7]
	v_cmp_gt_i32_e32 vcc, s78, v42
	s_and_saveexec_b64 s[6:7], vcc
	s_cbranch_execz .LBB1_195
.LBB1_194:                              ;   in Loop: Header=BB1_79 Depth=1
	ds_read_u16 v20, v75
	s_waitcnt lgkmcnt(0)
	v_perm_b32 v19, v20, v19, s70
.LBB1_195:                              ;   in Loop: Header=BB1_79 Depth=1
	s_or_b64 exec, exec, s[6:7]
.LBB1_196:                              ;   in Loop: Header=BB1_79 Depth=1
	s_or_b64 exec, exec, s[4:5]
	s_mov_b32 s45, s44
	v_cmp_gt_i32_e32 vcc, s77, v39
	v_pk_mov_b32 v[20:21], s[44:45], s[44:45] op_sel:[0,1]
	s_and_saveexec_b64 s[4:5], vcc
	s_cbranch_execnz .LBB1_215
; %bb.197:                              ;   in Loop: Header=BB1_79 Depth=1
	s_or_b64 exec, exec, s[4:5]
	v_cmp_gt_i32_e64 s[4:5], s78, v44
	s_and_saveexec_b64 s[6:7], s[4:5]
	s_cbranch_execnz .LBB1_216
.LBB1_198:                              ;   in Loop: Header=BB1_79 Depth=1
	s_or_b64 exec, exec, s[6:7]
	v_cmp_gt_i32_e64 s[6:7], s78, v43
	s_and_saveexec_b64 s[26:27], s[6:7]
	s_cbranch_execnz .LBB1_217
.LBB1_199:                              ;   in Loop: Header=BB1_79 Depth=1
	s_or_b64 exec, exec, s[26:27]
	v_cmp_gt_i32_e64 s[26:27], s78, v42
	s_and_saveexec_b64 s[34:35], s[26:27]
	s_cbranch_execz .LBB1_201
.LBB1_200:                              ;   in Loop: Header=BB1_79 Depth=1
	ds_read_u16 v30, v49
	s_waitcnt lgkmcnt(0)
	v_perm_b32 v21, v30, v21, s70
.LBB1_201:                              ;   in Loop: Header=BB1_79 Depth=1
	s_or_b64 exec, exec, s[34:35]
	s_mov_b32 s45, s44
	v_pk_mov_b32 v[32:33], s[44:45], s[44:45] op_sel:[0,1]
	s_and_saveexec_b64 s[34:35], vcc
	s_cbranch_execnz .LBB1_218
; %bb.202:                              ;   in Loop: Header=BB1_79 Depth=1
	s_or_b64 exec, exec, s[34:35]
	s_and_saveexec_b64 s[34:35], s[4:5]
	s_cbranch_execnz .LBB1_219
.LBB1_203:                              ;   in Loop: Header=BB1_79 Depth=1
	s_or_b64 exec, exec, s[34:35]
	s_and_saveexec_b64 s[34:35], s[6:7]
	s_cbranch_execnz .LBB1_220
.LBB1_204:                              ;   in Loop: Header=BB1_79 Depth=1
	s_or_b64 exec, exec, s[34:35]
	s_and_saveexec_b64 s[34:35], s[26:27]
	s_cbranch_execz .LBB1_206
.LBB1_205:                              ;   in Loop: Header=BB1_79 Depth=1
	ds_read_u16 v30, v49 offset:512
	s_waitcnt lgkmcnt(0)
	v_perm_b32 v33, v30, v33, s70
.LBB1_206:                              ;   in Loop: Header=BB1_79 Depth=1
	s_or_b64 exec, exec, s[34:35]
	s_mov_b32 s45, s44
	v_pk_mov_b32 v[34:35], s[44:45], s[44:45] op_sel:[0,1]
	s_and_saveexec_b64 s[34:35], vcc
	s_cbranch_execnz .LBB1_221
; %bb.207:                              ;   in Loop: Header=BB1_79 Depth=1
	s_or_b64 exec, exec, s[34:35]
	s_and_saveexec_b64 s[34:35], s[4:5]
	s_cbranch_execnz .LBB1_222
.LBB1_208:                              ;   in Loop: Header=BB1_79 Depth=1
	s_or_b64 exec, exec, s[34:35]
	s_and_saveexec_b64 s[34:35], s[6:7]
	s_cbranch_execnz .LBB1_223
.LBB1_209:                              ;   in Loop: Header=BB1_79 Depth=1
	s_or_b64 exec, exec, s[34:35]
	s_and_saveexec_b64 s[34:35], s[26:27]
	s_cbranch_execz .LBB1_211
.LBB1_210:                              ;   in Loop: Header=BB1_79 Depth=1
	ds_read_u16 v30, v49 offset:1024
	s_waitcnt lgkmcnt(0)
	v_perm_b32 v35, v30, v35, s70
.LBB1_211:                              ;   in Loop: Header=BB1_79 Depth=1
	s_or_b64 exec, exec, s[34:35]
	s_mov_b32 s45, s44
	v_pk_mov_b32 v[36:37], s[44:45], s[44:45] op_sel:[0,1]
	s_and_saveexec_b64 s[34:35], vcc
	s_cbranch_execnz .LBB1_224
; %bb.212:                              ;   in Loop: Header=BB1_79 Depth=1
	s_or_b64 exec, exec, s[34:35]
	s_and_saveexec_b64 s[34:35], s[4:5]
	s_cbranch_execnz .LBB1_225
.LBB1_213:                              ;   in Loop: Header=BB1_79 Depth=1
	s_or_b64 exec, exec, s[34:35]
	s_and_saveexec_b64 s[4:5], s[6:7]
	s_cbranch_execnz .LBB1_226
.LBB1_214:                              ;   in Loop: Header=BB1_79 Depth=1
	s_or_b64 exec, exec, s[4:5]
	s_and_saveexec_b64 s[4:5], s[26:27]
	s_cbranch_execz .LBB1_78
	s_branch .LBB1_227
.LBB1_215:                              ;   in Loop: Header=BB1_79 Depth=1
	ds_read_u16 v20, v48
	s_waitcnt lgkmcnt(0)
	v_and_b32_e32 v30, 0xffff, v20
	v_pk_mov_b32 v[20:21], v[30:31], v[30:31] op_sel:[0,1]
	s_or_b64 exec, exec, s[4:5]
	v_cmp_gt_i32_e64 s[4:5], s78, v44
	s_and_saveexec_b64 s[6:7], s[4:5]
	s_cbranch_execz .LBB1_198
.LBB1_216:                              ;   in Loop: Header=BB1_79 Depth=1
	ds_read_u16 v30, v48 offset:2
	s_waitcnt lgkmcnt(0)
	v_perm_b32 v20, v30, v20, s70
	s_or_b64 exec, exec, s[6:7]
	v_cmp_gt_i32_e64 s[6:7], s78, v43
	s_and_saveexec_b64 s[26:27], s[6:7]
	s_cbranch_execz .LBB1_199
.LBB1_217:                              ;   in Loop: Header=BB1_79 Depth=1
	ds_read_u16 v30, v48 offset:4
	s_waitcnt lgkmcnt(0)
	v_bfi_b32 v21, s74, v30, v21
	s_or_b64 exec, exec, s[26:27]
	v_cmp_gt_i32_e64 s[26:27], s78, v42
	s_and_saveexec_b64 s[34:35], s[26:27]
	s_cbranch_execnz .LBB1_200
	s_branch .LBB1_201
.LBB1_218:                              ;   in Loop: Header=BB1_79 Depth=1
	ds_read_u16 v30, v48 offset:512
	s_waitcnt lgkmcnt(0)
	v_and_b32_e32 v30, 0xffff, v30
	v_pk_mov_b32 v[32:33], v[30:31], v[30:31] op_sel:[0,1]
	s_or_b64 exec, exec, s[34:35]
	s_and_saveexec_b64 s[34:35], s[4:5]
	s_cbranch_execz .LBB1_203
.LBB1_219:                              ;   in Loop: Header=BB1_79 Depth=1
	ds_read_u16 v30, v48 offset:514
	s_waitcnt lgkmcnt(0)
	v_perm_b32 v32, v30, v32, s70
	s_or_b64 exec, exec, s[34:35]
	s_and_saveexec_b64 s[34:35], s[6:7]
	s_cbranch_execz .LBB1_204
.LBB1_220:                              ;   in Loop: Header=BB1_79 Depth=1
	ds_read_u16 v30, v48 offset:516
	s_waitcnt lgkmcnt(0)
	v_bfi_b32 v33, s74, v30, v33
	s_or_b64 exec, exec, s[34:35]
	s_and_saveexec_b64 s[34:35], s[26:27]
	s_cbranch_execnz .LBB1_205
	s_branch .LBB1_206
.LBB1_221:                              ;   in Loop: Header=BB1_79 Depth=1
	ds_read_u16 v30, v48 offset:1024
	s_waitcnt lgkmcnt(0)
	v_and_b32_e32 v30, 0xffff, v30
	v_pk_mov_b32 v[34:35], v[30:31], v[30:31] op_sel:[0,1]
	s_or_b64 exec, exec, s[34:35]
	s_and_saveexec_b64 s[34:35], s[4:5]
	s_cbranch_execz .LBB1_208
.LBB1_222:                              ;   in Loop: Header=BB1_79 Depth=1
	ds_read_u16 v30, v48 offset:1026
	s_waitcnt lgkmcnt(0)
	v_perm_b32 v34, v30, v34, s70
	s_or_b64 exec, exec, s[34:35]
	s_and_saveexec_b64 s[34:35], s[6:7]
	s_cbranch_execz .LBB1_209
.LBB1_223:                              ;   in Loop: Header=BB1_79 Depth=1
	ds_read_u16 v30, v48 offset:1028
	s_waitcnt lgkmcnt(0)
	v_bfi_b32 v35, s74, v30, v35
	s_or_b64 exec, exec, s[34:35]
	s_and_saveexec_b64 s[34:35], s[26:27]
	s_cbranch_execnz .LBB1_210
	s_branch .LBB1_211
.LBB1_224:                              ;   in Loop: Header=BB1_79 Depth=1
	ds_read_u16 v30, v50
	s_waitcnt lgkmcnt(0)
	v_and_b32_e32 v30, 0xffff, v30
	v_pk_mov_b32 v[36:37], v[30:31], v[30:31] op_sel:[0,1]
	s_or_b64 exec, exec, s[34:35]
	s_and_saveexec_b64 s[34:35], s[4:5]
	s_cbranch_execz .LBB1_213
.LBB1_225:                              ;   in Loop: Header=BB1_79 Depth=1
	ds_read_u16 v30, v50 offset:2
	s_waitcnt lgkmcnt(0)
	v_perm_b32 v36, v30, v36, s70
	s_or_b64 exec, exec, s[34:35]
	s_and_saveexec_b64 s[4:5], s[6:7]
	s_cbranch_execz .LBB1_214
.LBB1_226:                              ;   in Loop: Header=BB1_79 Depth=1
	ds_read_u16 v30, v50 offset:4
	s_waitcnt lgkmcnt(0)
	v_bfi_b32 v37, s74, v30, v37
	s_or_b64 exec, exec, s[4:5]
	s_and_saveexec_b64 s[4:5], s[26:27]
	s_cbranch_execz .LBB1_78
.LBB1_227:                              ;   in Loop: Header=BB1_79 Depth=1
	ds_read_u16 v30, v51
	s_waitcnt lgkmcnt(0)
	v_perm_b32 v37, v30, v37, s70
	s_branch .LBB1_78
.LBB1_228:                              ;   in Loop: Header=BB1_79 Depth=1
	ds_read_u16 v18, v74
	s_waitcnt lgkmcnt(0)
	v_and_b32_e32 v30, 0xffff, v18
	v_pk_mov_b32 v[18:19], v[30:31], v[30:31] op_sel:[0,1]
	s_or_b64 exec, exec, s[6:7]
	v_cmp_gt_i32_e32 vcc, s78, v44
	s_and_saveexec_b64 s[6:7], vcc
	s_cbranch_execz .LBB1_192
.LBB1_229:                              ;   in Loop: Header=BB1_79 Depth=1
	ds_read_u16 v20, v74 offset:2
	s_waitcnt lgkmcnt(0)
	v_perm_b32 v18, v20, v18, s70
	s_or_b64 exec, exec, s[6:7]
	v_cmp_gt_i32_e32 vcc, s78, v43
	s_and_saveexec_b64 s[6:7], vcc
	s_cbranch_execz .LBB1_193
.LBB1_230:                              ;   in Loop: Header=BB1_79 Depth=1
	ds_read_u16 v20, v74 offset:4
	s_waitcnt lgkmcnt(0)
	v_bfi_b32 v19, s74, v20, v19
	s_or_b64 exec, exec, s[6:7]
	v_cmp_gt_i32_e32 vcc, s78, v42
	s_and_saveexec_b64 s[6:7], vcc
	s_cbranch_execnz .LBB1_194
	s_branch .LBB1_195
.LBB1_231:                              ;   in Loop: Header=BB1_79 Depth=1
                                        ; implicit-def: $vgpr19
.LBB1_232:                              ;   in Loop: Header=BB1_79 Depth=1
	v_and_b32_e32 v19, s66, v18
.LBB1_233:                              ;   in Loop: Header=BB1_79 Depth=1
	v_mov_b32_e32 v18, v19
.LBB1_234:                              ;   in Loop: Header=BB1_79 Depth=1
	s_and_b64 s[34:35], s[0:1], exec
	s_andn2_saveexec_b64 s[4:5], s[4:5]
	s_cbranch_execz .LBB1_81
.LBB1_235:                              ;   in Loop: Header=BB1_79 Depth=1
	s_andn2_b64 s[34:35], s[34:35], exec
	s_and_b64 s[36:37], s[0:1], exec
	v_mov_b32_e32 v18, 0
	s_or_b64 s[34:35], s[34:35], s[36:37]
	s_or_b64 exec, exec, s[4:5]
	s_and_saveexec_b64 s[4:5], s[34:35]
	s_cbranch_execnz .LBB1_82
	s_branch .LBB1_83
.LBB1_236:
	s_cmp_lg_u64 s[40:41], 0
	s_cbranch_scc0 .LBB1_278
; %bb.237:
	v_cmp_eq_u32_e32 vcc, 0, v38
	s_and_saveexec_b64 s[0:1], vcc
	s_cbranch_execz .LBB1_275
; %bb.238:
	v_cmp_le_u32_e32 vcc, s39, v39
	s_and_saveexec_b64 s[2:3], vcc
	s_xor_b64 s[2:3], exec, s[2:3]
	s_cbranch_execz .LBB1_240
; %bb.239:
	v_mov_b32_e32 v1, 1.0
	ds_write_b32 v41, v1 offset:4928
.LBB1_240:
	s_andn2_saveexec_b64 s[2:3], s[2:3]
	s_cbranch_execz .LBB1_246
; %bb.241:
	v_add_u32_e32 v18, s33, v39
	v_ashrrev_i32_e32 v19, 31, v18
	v_lshlrev_b64 v[18:19], 1, v[18:19]
	v_mov_b32_e32 v1, s41
	v_add_co_u32_e32 v18, vcc, s40, v18
	v_addc_co_u32_e32 v19, vcc, v1, v19, vcc
	global_load_ushort v1, v[18:19], off
	s_movk_i32 s4, 0x1f8
	s_waitcnt vmcnt(0)
	v_lshlrev_b32_e32 v1, 16, v1
	v_cmp_class_f32_e64 s[4:5], v1, s4
	s_and_saveexec_b64 s[6:7], s[4:5]
	s_xor_b64 s[4:5], exec, s[6:7]
	s_cbranch_execz .LBB1_243
; %bb.242:
	v_add_u32_e32 v20, 0x1000, v41
	ds_read2_b32 v[18:19], v20 offset0:144 offset1:160
	v_max_f32_e32 v21, v1, v1
	s_mov_b32 s6, 0xff800000
	s_waitcnt lgkmcnt(0)
	v_max_f32_e32 v22, v19, v19
	v_max_f32_e32 v21, v22, v21
	v_sub_f32_e32 v22, v19, v21
	v_sub_f32_e32 v1, v1, v21
	v_mul_f32_e32 v22, 0x3fb8aa3b, v22
	v_exp_f32_e32 v22, v22
	v_mul_f32_e32 v1, 0x3fb8aa3b, v1
	v_exp_f32_e32 v1, v1
	v_cmp_neq_f32_e32 vcc, s6, v19
	v_cndmask_b32_e32 v19, 0, v22, vcc
	v_mul_f32_e32 v22, v18, v19
	v_fmac_f32_e32 v1, v18, v19
	v_div_scale_f32 v18, s[6:7], v1, v1, v22
	v_rcp_f32_e32 v19, v18
	v_div_scale_f32 v23, vcc, v22, v1, v22
	v_fma_f32 v24, -v18, v19, 1.0
	v_fmac_f32_e32 v19, v24, v19
	v_mul_f32_e32 v24, v23, v19
	v_fma_f32 v25, -v18, v24, v23
	v_fmac_f32_e32 v24, v25, v19
	v_fma_f32 v18, -v18, v24, v23
	v_div_fmas_f32 v18, v18, v19, v24
	v_div_fixup_f32 v18, v18, v1, v22
	v_cmp_lt_f32_e32 vcc, 0, v1
	v_cndmask_b32_e32 v18, 1.0, v18, vcc
	ds_write_b32 v41, v18 offset:4928
	ds_write2_b32 v20, v1, v21 offset0:144 offset1:160
.LBB1_243:
	s_andn2_saveexec_b64 s[4:5], s[4:5]
	s_cbranch_execz .LBB1_245
; %bb.244:
	v_mov_b32_e32 v1, 1.0
	ds_write_b32 v41, v1 offset:4928
.LBB1_245:
	s_or_b64 exec, exec, s[4:5]
.LBB1_246:
	s_or_b64 exec, exec, s[2:3]
	v_or_b32_e32 v1, 1, v40
	v_cmp_le_u32_e32 vcc, s62, v1
	s_and_saveexec_b64 s[2:3], vcc
	s_xor_b64 s[2:3], exec, s[2:3]
	s_cbranch_execz .LBB1_250
; %bb.247:
	v_cmp_gt_u32_e32 vcc, 64, v0
	s_and_saveexec_b64 s[4:5], vcc
	s_cbranch_execz .LBB1_249
; %bb.248:
	v_lshlrev_b32_e32 v1, 2, v40
	v_mov_b32_e32 v18, 1.0
	ds_write_b32 v1, v18 offset:4932
.LBB1_249:
	s_or_b64 exec, exec, s[4:5]
.LBB1_250:
	s_andn2_saveexec_b64 s[2:3], s[2:3]
	s_cbranch_execz .LBB1_256
; %bb.251:
	s_ashr_i32 s4, s33, 31
	v_mov_b32_e32 v1, s4
	v_add_co_u32_e32 v18, vcc, s33, v40
	v_addc_co_u32_e32 v19, vcc, 0, v1, vcc
	v_lshlrev_b64 v[18:19], 1, v[18:19]
	v_mov_b32_e32 v1, s41
	v_add_co_u32_e32 v18, vcc, s40, v18
	v_addc_co_u32_e32 v19, vcc, v1, v19, vcc
	global_load_ushort v1, v[18:19], off offset:2
	s_movk_i32 s4, 0x1f8
	s_waitcnt vmcnt(0)
	v_lshlrev_b32_e32 v1, 16, v1
	v_cmp_class_f32_e64 s[4:5], v1, s4
	s_and_saveexec_b64 s[6:7], s[4:5]
	s_xor_b64 s[4:5], exec, s[6:7]
	s_cbranch_execz .LBB1_253
; %bb.252:
	v_lshlrev_b32_e32 v20, 2, v40
	v_add_u32_e32 v21, 0x1000, v20
	ds_read2_b32 v[18:19], v21 offset0:145 offset1:161
	v_max_f32_e32 v22, v1, v1
	s_mov_b32 s6, 0xff800000
	s_waitcnt lgkmcnt(0)
	v_max_f32_e32 v23, v19, v19
	v_max_f32_e32 v22, v23, v22
	v_sub_f32_e32 v23, v19, v22
	v_sub_f32_e32 v1, v1, v22
	v_mul_f32_e32 v23, 0x3fb8aa3b, v23
	v_exp_f32_e32 v23, v23
	v_mul_f32_e32 v1, 0x3fb8aa3b, v1
	v_exp_f32_e32 v1, v1
	v_cmp_neq_f32_e32 vcc, s6, v19
	v_cndmask_b32_e32 v19, 0, v23, vcc
	v_mul_f32_e32 v23, v18, v19
	v_fmac_f32_e32 v1, v18, v19
	v_div_scale_f32 v18, s[6:7], v1, v1, v23
	v_rcp_f32_e32 v19, v18
	v_div_scale_f32 v24, vcc, v23, v1, v23
	v_fma_f32 v25, -v18, v19, 1.0
	v_fmac_f32_e32 v19, v25, v19
	v_mul_f32_e32 v25, v24, v19
	v_fma_f32 v26, -v18, v25, v24
	v_fmac_f32_e32 v25, v26, v19
	v_fma_f32 v18, -v18, v25, v24
	v_div_fmas_f32 v18, v18, v19, v25
	v_div_fixup_f32 v18, v18, v1, v23
	v_cmp_lt_f32_e32 vcc, 0, v1
	v_cndmask_b32_e32 v18, 1.0, v18, vcc
	ds_write_b32 v20, v18 offset:4932
	ds_write2_b32 v21, v1, v22 offset0:145 offset1:161
.LBB1_253:
	s_andn2_saveexec_b64 s[4:5], s[4:5]
	s_cbranch_execz .LBB1_255
; %bb.254:
	v_lshlrev_b32_e32 v1, 2, v40
	v_mov_b32_e32 v18, 1.0
	ds_write_b32 v1, v18 offset:4932
.LBB1_255:
	s_or_b64 exec, exec, s[4:5]
.LBB1_256:
	s_or_b64 exec, exec, s[2:3]
	v_or_b32_e32 v1, 2, v40
	v_cmp_le_u32_e32 vcc, s62, v1
	s_and_saveexec_b64 s[2:3], vcc
	s_xor_b64 s[2:3], exec, s[2:3]
	s_cbranch_execz .LBB1_260
; %bb.257:
	v_cmp_gt_u32_e32 vcc, 64, v0
	s_and_saveexec_b64 s[4:5], vcc
	s_cbranch_execz .LBB1_259
; %bb.258:
	v_lshlrev_b32_e32 v1, 2, v40
	v_mov_b32_e32 v18, 1.0
	ds_write_b32 v1, v18 offset:4936
.LBB1_259:
	s_or_b64 exec, exec, s[4:5]
.LBB1_260:
	s_andn2_saveexec_b64 s[2:3], s[2:3]
	s_cbranch_execz .LBB1_266
; %bb.261:
	s_ashr_i32 s4, s33, 31
	v_mov_b32_e32 v1, s4
	v_add_co_u32_e32 v18, vcc, s33, v40
	v_addc_co_u32_e32 v19, vcc, 0, v1, vcc
	v_lshlrev_b64 v[18:19], 1, v[18:19]
	v_mov_b32_e32 v1, s41
	v_add_co_u32_e32 v18, vcc, s40, v18
	v_addc_co_u32_e32 v19, vcc, v1, v19, vcc
	global_load_ushort v1, v[18:19], off offset:4
	s_movk_i32 s4, 0x1f8
	s_waitcnt vmcnt(0)
	v_lshlrev_b32_e32 v1, 16, v1
	v_cmp_class_f32_e64 s[4:5], v1, s4
	s_and_saveexec_b64 s[6:7], s[4:5]
	s_xor_b64 s[4:5], exec, s[6:7]
	s_cbranch_execz .LBB1_263
; %bb.262:
	v_lshlrev_b32_e32 v20, 2, v40
	v_add_u32_e32 v21, 0x1000, v20
	ds_read2_b32 v[18:19], v21 offset0:146 offset1:162
	v_max_f32_e32 v22, v1, v1
	s_mov_b32 s6, 0xff800000
	s_waitcnt lgkmcnt(0)
	v_max_f32_e32 v23, v19, v19
	v_max_f32_e32 v22, v23, v22
	v_sub_f32_e32 v23, v19, v22
	v_sub_f32_e32 v1, v1, v22
	v_mul_f32_e32 v23, 0x3fb8aa3b, v23
	v_exp_f32_e32 v23, v23
	v_mul_f32_e32 v1, 0x3fb8aa3b, v1
	v_exp_f32_e32 v1, v1
	v_cmp_neq_f32_e32 vcc, s6, v19
	v_cndmask_b32_e32 v19, 0, v23, vcc
	v_mul_f32_e32 v23, v18, v19
	v_fmac_f32_e32 v1, v18, v19
	v_div_scale_f32 v18, s[6:7], v1, v1, v23
	v_rcp_f32_e32 v19, v18
	v_div_scale_f32 v24, vcc, v23, v1, v23
	v_fma_f32 v25, -v18, v19, 1.0
	v_fmac_f32_e32 v19, v25, v19
	v_mul_f32_e32 v25, v24, v19
	v_fma_f32 v26, -v18, v25, v24
	v_fmac_f32_e32 v25, v26, v19
	v_fma_f32 v18, -v18, v25, v24
	v_div_fmas_f32 v18, v18, v19, v25
	v_div_fixup_f32 v18, v18, v1, v23
	v_cmp_lt_f32_e32 vcc, 0, v1
	v_cndmask_b32_e32 v18, 1.0, v18, vcc
	ds_write_b32 v20, v18 offset:4936
	ds_write2_b32 v21, v1, v22 offset0:146 offset1:162
.LBB1_263:
	s_andn2_saveexec_b64 s[4:5], s[4:5]
	s_cbranch_execz .LBB1_265
; %bb.264:
	v_lshlrev_b32_e32 v1, 2, v40
	v_mov_b32_e32 v18, 1.0
	ds_write_b32 v1, v18 offset:4936
.LBB1_265:
	s_or_b64 exec, exec, s[4:5]
.LBB1_266:
	s_or_b64 exec, exec, s[2:3]
	v_cmp_le_u32_e32 vcc, s62, v42
	s_and_saveexec_b64 s[2:3], vcc
	s_xor_b64 s[2:3], exec, s[2:3]
	s_cbranch_execz .LBB1_270
; %bb.267:
	v_cmp_gt_u32_e32 vcc, 64, v0
	s_and_saveexec_b64 s[4:5], vcc
	s_cbranch_execz .LBB1_269
; %bb.268:
	v_lshlrev_b32_e32 v1, 2, v40
	v_mov_b32_e32 v18, 1.0
	ds_write_b32 v1, v18 offset:4940
.LBB1_269:
	s_or_b64 exec, exec, s[4:5]
.LBB1_270:
	s_andn2_saveexec_b64 s[2:3], s[2:3]
	s_cbranch_execz .LBB1_275
; %bb.271:
	s_ashr_i32 s2, s33, 31
	v_mov_b32_e32 v1, s2
	v_add_co_u32_e32 v18, vcc, s33, v40
	v_addc_co_u32_e32 v19, vcc, 0, v1, vcc
	v_lshlrev_b64 v[18:19], 1, v[18:19]
	v_mov_b32_e32 v1, s41
	v_add_co_u32_e32 v18, vcc, s40, v18
	v_addc_co_u32_e32 v19, vcc, v1, v19, vcc
	global_load_ushort v1, v[18:19], off offset:6
	s_movk_i32 s2, 0x1f8
	s_waitcnt vmcnt(0)
	v_lshlrev_b32_e32 v18, 16, v1
	v_cmp_class_f32_e64 s[2:3], v18, s2
	v_lshlrev_b32_e32 v1, 2, v40
	s_and_saveexec_b64 s[4:5], s[2:3]
	s_xor_b64 s[2:3], exec, s[4:5]
	s_cbranch_execz .LBB1_273
; %bb.272:
	v_add_u32_e32 v19, 0x1000, v1
	ds_read2_b32 v[20:21], v19 offset0:147 offset1:163
	v_max_f32_e32 v22, v18, v18
	s_mov_b32 s4, 0xff800000
	s_waitcnt lgkmcnt(0)
	v_max_f32_e32 v23, v21, v21
	v_max_f32_e32 v22, v23, v22
	v_sub_f32_e32 v23, v21, v22
	v_sub_f32_e32 v18, v18, v22
	v_mul_f32_e32 v23, 0x3fb8aa3b, v23
	v_exp_f32_e32 v23, v23
	v_mul_f32_e32 v18, 0x3fb8aa3b, v18
	v_exp_f32_e32 v18, v18
	v_cmp_neq_f32_e32 vcc, s4, v21
	v_cndmask_b32_e32 v21, 0, v23, vcc
	v_mul_f32_e32 v23, v20, v21
	v_fmac_f32_e32 v18, v20, v21
	v_div_scale_f32 v20, s[4:5], v18, v18, v23
	v_rcp_f32_e32 v21, v20
	v_div_scale_f32 v24, vcc, v23, v18, v23
	v_fma_f32 v25, -v20, v21, 1.0
	v_fmac_f32_e32 v21, v25, v21
	v_mul_f32_e32 v25, v24, v21
	v_fma_f32 v26, -v20, v25, v24
	v_fmac_f32_e32 v25, v26, v21
	v_fma_f32 v20, -v20, v25, v24
	v_div_fmas_f32 v20, v20, v21, v25
	v_div_fixup_f32 v20, v20, v18, v23
	v_cmp_lt_f32_e32 vcc, 0, v18
	v_cndmask_b32_e32 v20, 1.0, v20, vcc
	ds_write_b32 v1, v20 offset:4940
	ds_write2_b32 v19, v18, v22 offset0:147 offset1:163
                                        ; implicit-def: $vgpr1
.LBB1_273:
	s_andn2_saveexec_b64 s[2:3], s[2:3]
	s_cbranch_execz .LBB1_275
; %bb.274:
	v_mov_b32_e32 v18, 1.0
	ds_write_b32 v1, v18 offset:4940
.LBB1_275:
	s_or_b64 exec, exec, s[0:1]
	s_waitcnt lgkmcnt(0)
	s_barrier
	ds_read_b96 v[18:20], v41 offset:4928
	v_cmp_gt_u32_e32 vcc, 64, v0
	v_mov_b32_e32 v1, 1.0
	s_and_saveexec_b64 s[0:1], vcc
	s_cbranch_execz .LBB1_277
; %bb.276:
	v_lshl_or_b32 v1, v40, 2, 12
	ds_read_b32 v1, v1 offset:4928
.LBB1_277:
	s_or_b64 exec, exec, s[0:1]
	s_waitcnt lgkmcnt(0)
	v_pk_mul_f32 v[14:15], v[14:15], v[18:19]
	v_pk_mul_f32 v[10:11], v[10:11], v[18:19]
	;; [unrolled: 1-line block ×4, first 2 shown]
	v_mul_f32_e32 v12, v12, v20
	v_mul_f32_e32 v4, v4, v20
	;; [unrolled: 1-line block ×8, first 2 shown]
.LBB1_278:
	s_lshl_b64 s[0:1], s[48:49], 2
	s_add_u32 s2, s42, s0
	v_or_b32_e32 v0, 48, v0
	s_addc_u32 s3, s43, s1
	v_cmp_gt_u32_e32 vcc, s39, v39
	v_lshlrev_b32_e32 v1, 2, v38
	v_lshlrev_b32_e32 v0, 2, v0
	s_and_saveexec_b64 s[0:1], vcc
	s_cbranch_execnz .LBB1_284
; %bb.279:
	s_or_b64 exec, exec, s[0:1]
	v_cmp_gt_u32_e32 vcc, s62, v44
	s_and_saveexec_b64 s[0:1], vcc
	s_cbranch_execnz .LBB1_285
.LBB1_280:
	s_or_b64 exec, exec, s[0:1]
	v_cmp_gt_u32_e32 vcc, s62, v43
	s_and_saveexec_b64 s[0:1], vcc
	s_cbranch_execnz .LBB1_286
.LBB1_281:
	s_or_b64 exec, exec, s[0:1]
	v_cmp_gt_u32_e32 vcc, s62, v42
	s_and_b64 exec, exec, vcc
	s_cbranch_execz .LBB1_283
.LBB1_282:
	v_add_u32_e32 v2, s33, v42
	v_ashrrev_i32_e32 v3, 31, v2
	v_lshlrev_b64 v[2:3], 8, v[2:3]
	v_mov_b32_e32 v4, s3
	v_add_co_u32_e32 v6, vcc, s2, v2
	v_addc_co_u32_e32 v4, vcc, v4, v3, vcc
	v_add_co_u32_e32 v2, vcc, v6, v1
	v_addc_co_u32_e32 v3, vcc, 0, v4, vcc
	;; [unrolled: 2-line block ×3, first 2 shown]
	global_store_dword v[2:3], v13, off
	global_store_dword v[2:3], v5, off offset:64
	global_store_dword v[2:3], v9, off offset:128
	global_store_dword v[0:1], v17, off
.LBB1_283:
	s_endpgm
.LBB1_284:
	v_add_u32_e32 v18, s33, v39
	v_ashrrev_i32_e32 v19, 31, v18
	v_lshlrev_b64 v[18:19], 8, v[18:19]
	v_mov_b32_e32 v20, s3
	v_add_co_u32_e32 v21, vcc, s2, v18
	v_addc_co_u32_e32 v20, vcc, v20, v19, vcc
	v_add_co_u32_e32 v18, vcc, v21, v1
	v_addc_co_u32_e32 v19, vcc, 0, v20, vcc
	global_store_dword v[18:19], v10, off
	global_store_dword v[18:19], v2, off offset:64
	global_store_dword v[18:19], v6, off offset:128
	v_add_co_u32_e32 v18, vcc, v21, v0
	v_addc_co_u32_e32 v19, vcc, 0, v20, vcc
	global_store_dword v[18:19], v14, off
	s_or_b64 exec, exec, s[0:1]
	v_cmp_gt_u32_e32 vcc, s62, v44
	s_and_saveexec_b64 s[0:1], vcc
	s_cbranch_execz .LBB1_280
.LBB1_285:
	v_add_u32_e32 v18, s33, v44
	v_ashrrev_i32_e32 v19, 31, v18
	v_lshlrev_b64 v[18:19], 8, v[18:19]
	v_mov_b32_e32 v2, s3
	v_add_co_u32_e32 v6, vcc, s2, v18
	v_addc_co_u32_e32 v10, vcc, v2, v19, vcc
	v_add_co_u32_e32 v18, vcc, v6, v1
	v_addc_co_u32_e32 v19, vcc, 0, v10, vcc
	v_add_co_u32_e32 v2, vcc, v6, v0
	global_store_dword v[18:19], v11, off
	global_store_dword v[18:19], v3, off offset:64
	global_store_dword v[18:19], v7, off offset:128
	v_addc_co_u32_e32 v3, vcc, 0, v10, vcc
	global_store_dword v[2:3], v15, off
	s_or_b64 exec, exec, s[0:1]
	v_cmp_gt_u32_e32 vcc, s62, v43
	s_and_saveexec_b64 s[0:1], vcc
	s_cbranch_execz .LBB1_281
.LBB1_286:
	v_add_u32_e32 v2, s33, v43
	v_ashrrev_i32_e32 v3, 31, v2
	v_lshlrev_b64 v[2:3], 8, v[2:3]
	v_mov_b32_e32 v6, s3
	v_add_co_u32_e32 v7, vcc, s2, v2
	v_addc_co_u32_e32 v6, vcc, v6, v3, vcc
	v_add_co_u32_e32 v2, vcc, v7, v1
	v_addc_co_u32_e32 v3, vcc, 0, v6, vcc
	global_store_dword v[2:3], v12, off
	global_store_dword v[2:3], v4, off offset:64
	global_store_dword v[2:3], v8, off offset:128
	v_add_co_u32_e32 v2, vcc, v7, v0
	v_addc_co_u32_e32 v3, vcc, 0, v6, vcc
	global_store_dword v[2:3], v16, off
	s_or_b64 exec, exec, s[0:1]
	v_cmp_gt_u32_e32 vcc, s62, v42
	s_and_b64 exec, exec, vcc
	s_cbranch_execnz .LBB1_282
	s_branch .LBB1_283
	.section	.rodata,"a",@progbits
	.p2align	6, 0x0
	.amdhsa_kernel _Z22fa2_decode_mfma_head64I14__hip_bfloat16Lb0ELi16ELi16EEvPKfPKvS4_S2_PKS0_PfiiiiiiiiPKiS9_xPKxS9_S9_i
		.amdhsa_group_segment_fixed_size 4992
		.amdhsa_private_segment_fixed_size 0
		.amdhsa_kernarg_size 132
		.amdhsa_user_sgpr_count 6
		.amdhsa_user_sgpr_private_segment_buffer 1
		.amdhsa_user_sgpr_dispatch_ptr 0
		.amdhsa_user_sgpr_queue_ptr 0
		.amdhsa_user_sgpr_kernarg_segment_ptr 1
		.amdhsa_user_sgpr_dispatch_id 0
		.amdhsa_user_sgpr_flat_scratch_init 0
		.amdhsa_user_sgpr_kernarg_preload_length 0
		.amdhsa_user_sgpr_kernarg_preload_offset 0
		.amdhsa_user_sgpr_private_segment_size 0
		.amdhsa_uses_dynamic_stack 0
		.amdhsa_system_sgpr_private_segment_wavefront_offset 0
		.amdhsa_system_sgpr_workgroup_id_x 1
		.amdhsa_system_sgpr_workgroup_id_y 1
		.amdhsa_system_sgpr_workgroup_id_z 0
		.amdhsa_system_sgpr_workgroup_info 0
		.amdhsa_system_vgpr_workitem_id 0
		.amdhsa_next_free_vgpr 96
		.amdhsa_next_free_sgpr 82
		.amdhsa_accum_offset 96
		.amdhsa_reserve_vcc 1
		.amdhsa_reserve_flat_scratch 0
		.amdhsa_float_round_mode_32 0
		.amdhsa_float_round_mode_16_64 0
		.amdhsa_float_denorm_mode_32 3
		.amdhsa_float_denorm_mode_16_64 3
		.amdhsa_dx10_clamp 1
		.amdhsa_ieee_mode 1
		.amdhsa_fp16_overflow 0
		.amdhsa_tg_split 0
		.amdhsa_exception_fp_ieee_invalid_op 0
		.amdhsa_exception_fp_denorm_src 0
		.amdhsa_exception_fp_ieee_div_zero 0
		.amdhsa_exception_fp_ieee_overflow 0
		.amdhsa_exception_fp_ieee_underflow 0
		.amdhsa_exception_fp_ieee_inexact 0
		.amdhsa_exception_int_div_zero 0
	.end_amdhsa_kernel
	.section	.text._Z22fa2_decode_mfma_head64I14__hip_bfloat16Lb0ELi16ELi16EEvPKfPKvS4_S2_PKS0_PfiiiiiiiiPKiS9_xPKxS9_S9_i,"axG",@progbits,_Z22fa2_decode_mfma_head64I14__hip_bfloat16Lb0ELi16ELi16EEvPKfPKvS4_S2_PKS0_PfiiiiiiiiPKiS9_xPKxS9_S9_i,comdat
.Lfunc_end1:
	.size	_Z22fa2_decode_mfma_head64I14__hip_bfloat16Lb0ELi16ELi16EEvPKfPKvS4_S2_PKS0_PfiiiiiiiiPKiS9_xPKxS9_S9_i, .Lfunc_end1-_Z22fa2_decode_mfma_head64I14__hip_bfloat16Lb0ELi16ELi16EEvPKfPKvS4_S2_PKS0_PfiiiiiiiiPKiS9_xPKxS9_S9_i
                                        ; -- End function
	.section	.AMDGPU.csdata,"",@progbits
; Kernel info:
; codeLenInByte = 11220
; NumSgprs: 86
; NumVgprs: 96
; NumAgprs: 0
; TotalNumVgprs: 96
; ScratchSize: 0
; MemoryBound: 0
; FloatMode: 240
; IeeeMode: 1
; LDSByteSize: 4992 bytes/workgroup (compile time only)
; SGPRBlocks: 10
; VGPRBlocks: 11
; NumSGPRsForWavesPerEU: 86
; NumVGPRsForWavesPerEU: 96
; AccumOffset: 96
; Occupancy: 5
; WaveLimiterHint : 1
; COMPUTE_PGM_RSRC2:SCRATCH_EN: 0
; COMPUTE_PGM_RSRC2:USER_SGPR: 6
; COMPUTE_PGM_RSRC2:TRAP_HANDLER: 0
; COMPUTE_PGM_RSRC2:TGID_X_EN: 1
; COMPUTE_PGM_RSRC2:TGID_Y_EN: 1
; COMPUTE_PGM_RSRC2:TGID_Z_EN: 0
; COMPUTE_PGM_RSRC2:TIDIG_COMP_CNT: 0
; COMPUTE_PGM_RSRC3_GFX90A:ACCUM_OFFSET: 23
; COMPUTE_PGM_RSRC3_GFX90A:TG_SPLIT: 0
	.section	.text._Z22fa2_decode_mfma_head64IfLb1ELi16ELi16EEvPKfPKvS3_S1_PK14__hip_bfloat16PfiiiiiiiiPKiS9_xPKxS9_S9_i,"axG",@progbits,_Z22fa2_decode_mfma_head64IfLb1ELi16ELi16EEvPKfPKvS3_S1_PK14__hip_bfloat16PfiiiiiiiiPKiS9_xPKxS9_S9_i,comdat
	.protected	_Z22fa2_decode_mfma_head64IfLb1ELi16ELi16EEvPKfPKvS3_S1_PK14__hip_bfloat16PfiiiiiiiiPKiS9_xPKxS9_S9_i ; -- Begin function _Z22fa2_decode_mfma_head64IfLb1ELi16ELi16EEvPKfPKvS3_S1_PK14__hip_bfloat16PfiiiiiiiiPKiS9_xPKxS9_S9_i
	.globl	_Z22fa2_decode_mfma_head64IfLb1ELi16ELi16EEvPKfPKvS3_S1_PK14__hip_bfloat16PfiiiiiiiiPKiS9_xPKxS9_S9_i
	.p2align	8
	.type	_Z22fa2_decode_mfma_head64IfLb1ELi16ELi16EEvPKfPKvS3_S1_PK14__hip_bfloat16PfiiiiiiiiPKiS9_xPKxS9_S9_i,@function
_Z22fa2_decode_mfma_head64IfLb1ELi16ELi16EEvPKfPKvS3_S1_PK14__hip_bfloat16PfiiiiiiiiPKiS9_xPKxS9_S9_i: ; @_Z22fa2_decode_mfma_head64IfLb1ELi16ELi16EEvPKfPKvS3_S1_PK14__hip_bfloat16PfiiiiiiiiPKiS9_xPKxS9_S9_i
; %bb.0:
	s_load_dwordx2 s[8:9], s[4:5], 0x30
	s_load_dwordx2 s[48:49], s[4:5], 0x3c
	v_cmp_gt_u32_e32 vcc, 64, v0
	s_waitcnt lgkmcnt(0)
	s_cmp_lt_i32 s7, s8
	s_cselect_b64 s[0:1], -1, 0
	s_and_b64 s[0:1], vcc, s[0:1]
	s_cmp_gt_i32 s49, 0
	s_cselect_b64 s[10:11], -1, 0
	s_and_b64 s[0:1], s[0:1], s[10:11]
	s_and_saveexec_b64 s[10:11], s[0:1]
	s_cbranch_execz .LBB2_312
; %bb.1:
	s_load_dwordx2 s[14:15], s[4:5], 0x48
	s_mul_i32 s33, s6, s49
	s_waitcnt lgkmcnt(0)
	s_cmp_ge_i32 s33, s15
	s_cbranch_scc1 .LBB2_312
; %bb.2:
	s_mov_b32 s2, s7
	s_load_dwordx4 s[24:27], s[4:5], 0x50
	s_load_dwordx2 s[0:1], s[4:5], 0x78
	s_load_dwordx4 s[20:23], s[4:5], 0x68
	s_load_dwordx2 s[16:17], s[4:5], 0x0
	s_ashr_i32 s3, s7, 31
	s_lshl_b64 s[10:11], s[2:3], 2
	s_waitcnt lgkmcnt(0)
	s_add_u32 s12, s24, s10
	s_addc_u32 s13, s25, s11
	s_ashr_i32 s25, s14, 31
	s_mov_b32 s24, s14
	s_lshl_b64 s[28:29], s[24:25], 2
	s_add_u32 s18, s0, s28
	s_addc_u32 s19, s1, s29
	s_lshl_b64 s[0:1], s[24:25], 3
	s_add_u32 s20, s20, s0
	s_addc_u32 s21, s21, s1
	s_add_u32 s22, s22, s28
	s_addc_u32 s23, s23, s29
	;; [unrolled: 2-line block ×3, first 2 shown]
	v_cmp_gt_u32_e64 s[0:1], 16, v0
	v_lshlrev_b32_e32 v1, 2, v0
	s_and_saveexec_b64 s[10:11], s[0:1]
	s_cbranch_execz .LBB2_4
; %bb.3:
	v_mov_b32_e32 v2, 0xff800000
	v_mov_b32_e32 v3, 0
	v_add_u32_e32 v4, 0x1000, v1
	ds_write2_b32 v4, v3, v2 offset0:144 offset1:160
.LBB2_4:
	s_or_b64 exec, exec, s[10:11]
	s_load_dwordx8 s[36:43], s[4:5], 0x8
	s_load_dwordx2 s[50:51], s[4:5], 0x28
	s_load_dwordx2 s[10:11], s[20:21], 0x0
	s_load_dword s58, s[12:13], 0x0
	s_load_dword s8, s[18:19], 0x0
	;; [unrolled: 1-line block ×4, first 2 shown]
	s_mul_hi_i32 s13, s2, s15
	s_mul_i32 s12, s2, s15
	v_and_b32_e32 v38, 15, v0
	s_lshl_b64 s[2:3], s[12:13], 8
	v_add_u32_e32 v2, s33, v38
	s_add_u32 s14, s16, s2
	v_rsq_f32_e32 v4, 0x42800000
	v_ashrrev_i32_e32 v3, 31, v2
	s_addc_u32 s15, s17, s3
	v_lshlrev_b64 v[2:3], 8, v[2:3]
	v_lshrrev_b32_e32 v40, 2, v0
	v_mov_b32_e32 v6, s15
	v_add_co_u32_e32 v5, vcc, s14, v2
	v_and_b32_e32 v39, 12, v40
	v_mov_b32_e32 v23, 0
	v_cmp_gt_u32_e64 s[2:3], s49, v38
	v_addc_co_u32_e32 v6, vcc, v6, v3, vcc
	v_lshlrev_b32_e32 v41, 2, v39
	v_mov_b32_e32 v22, v23
	s_waitcnt lgkmcnt(0)
	s_barrier
	s_and_saveexec_b64 s[14:15], s[2:3]
	s_cbranch_execz .LBB2_22
; %bb.5:
	v_add_co_u32_e32 v2, vcc, v5, v41
	v_addc_co_u32_e32 v3, vcc, 0, v6, vcc
	global_load_dword v7, v[2:3], off
	s_mov_b32 s16, 0x7f800000
	s_waitcnt vmcnt(0)
	v_mul_f32_e32 v8, v4, v7
	v_and_b32_e32 v7, 0x7f800000, v8
	v_cmp_ne_u32_e32 vcc, s16, v7
                                        ; implicit-def: $vgpr7
	s_and_saveexec_b64 s[16:17], vcc
	s_xor_b64 s[16:17], exec, s[16:17]
; %bb.6:
	v_bfe_u32 v7, v8, 16, 1
	s_movk_i32 s18, 0x7fff
	v_add3_u32 v7, v8, v7, s18
                                        ; implicit-def: $vgpr8
; %bb.7:
	s_andn2_saveexec_b64 s[16:17], s[16:17]
; %bb.8:
	v_mov_b32_e32 v7, 0
	v_or_b32_e32 v9, 0x10000, v8
	v_cmp_eq_u32_sdwa vcc, v8, v7 src0_sel:WORD_0 src1_sel:DWORD
	v_cndmask_b32_e32 v7, v9, v8, vcc
; %bb.9:
	s_or_b64 exec, exec, s[16:17]
	global_load_dword v8, v[2:3], off offset:4
	s_mov_b32 s16, 0x7f800000
	s_waitcnt vmcnt(0)
	v_mul_f32_e32 v9, v4, v8
	v_and_b32_e32 v8, 0x7f800000, v9
	v_cmp_ne_u32_e32 vcc, s16, v8
                                        ; implicit-def: $vgpr8
	s_and_saveexec_b64 s[16:17], vcc
	s_xor_b64 s[16:17], exec, s[16:17]
; %bb.10:
	v_bfe_u32 v8, v9, 16, 1
	s_movk_i32 s18, 0x7fff
	v_add3_u32 v8, v9, v8, s18
                                        ; implicit-def: $vgpr9
; %bb.11:
	s_andn2_saveexec_b64 s[16:17], s[16:17]
; %bb.12:
	v_mov_b32_e32 v8, 0
	v_or_b32_e32 v10, 0x10000, v9
	v_cmp_eq_u32_sdwa vcc, v9, v8 src0_sel:WORD_0 src1_sel:DWORD
	v_cndmask_b32_e32 v8, v10, v9, vcc
; %bb.13:
	s_or_b64 exec, exec, s[16:17]
	global_load_dword v2, v[2:3], off offset:8
	s_mov_b32 s16, 0x7f800000
	s_waitcnt vmcnt(0)
	v_mul_f32_e32 v3, v4, v2
	v_and_b32_e32 v2, 0x7f800000, v3
	v_cmp_ne_u32_e32 vcc, s16, v2
                                        ; implicit-def: $vgpr2
	s_and_saveexec_b64 s[16:17], vcc
	s_xor_b64 s[16:17], exec, s[16:17]
; %bb.14:
	v_bfe_u32 v2, v3, 16, 1
	s_movk_i32 s18, 0x7fff
	v_add3_u32 v2, v3, v2, s18
                                        ; implicit-def: $vgpr3
; %bb.15:
	s_andn2_saveexec_b64 s[16:17], s[16:17]
; %bb.16:
	v_mov_b32_e32 v2, 0
	v_or_b32_e32 v9, 0x10000, v3
	v_cmp_eq_u32_sdwa vcc, v3, v2 src0_sel:WORD_0 src1_sel:DWORD
	v_cndmask_b32_e32 v2, v9, v3, vcc
; %bb.17:
	s_or_b64 exec, exec, s[16:17]
	v_lshl_or_b32 v3, v40, 2, 12
	v_add_co_u32_e32 v10, vcc, v5, v3
	v_addc_co_u32_e32 v11, vcc, 0, v6, vcc
	global_load_dword v3, v[10:11], off
	s_mov_b32 s16, 0x7f800000
	s_waitcnt vmcnt(0)
	v_mul_f32_e32 v3, v4, v3
	v_and_b32_e32 v9, 0x7f800000, v3
	v_cmp_ne_u32_e32 vcc, s16, v9
                                        ; implicit-def: $vgpr9
	s_and_saveexec_b64 s[16:17], vcc
	s_xor_b64 s[16:17], exec, s[16:17]
; %bb.18:
	v_bfe_u32 v9, v3, 16, 1
	s_movk_i32 s18, 0x7fff
	v_add3_u32 v9, v3, v9, s18
                                        ; implicit-def: $vgpr3
; %bb.19:
	s_andn2_saveexec_b64 s[16:17], s[16:17]
; %bb.20:
	v_mov_b32_e32 v9, 0
	v_or_b32_e32 v10, 0x10000, v3
	v_cmp_eq_u32_sdwa vcc, v3, v9 src0_sel:WORD_0 src1_sel:DWORD
	v_cndmask_b32_e32 v9, v10, v3, vcc
; %bb.21:
	s_or_b64 exec, exec, s[16:17]
	s_mov_b32 s16, 0x7060302
	v_perm_b32 v22, v8, v7, s16
	v_perm_b32 v23, v9, v2, s16
.LBB2_22:
	s_or_b64 exec, exec, s[14:15]
	v_mov_b32_e32 v25, 0
	s_lshl_b64 s[52:53], s[12:13], 6
	v_mov_b32_e32 v24, v25
	s_and_saveexec_b64 s[12:13], s[2:3]
	s_cbranch_execz .LBB2_40
; %bb.23:
	v_add_co_u32_e32 v2, vcc, v5, v41
	v_addc_co_u32_e32 v3, vcc, 0, v6, vcc
	global_load_dword v7, v[2:3], off offset:64
	s_mov_b32 s14, 0x7f800000
	s_waitcnt vmcnt(0)
	v_mul_f32_e32 v8, v4, v7
	v_and_b32_e32 v7, 0x7f800000, v8
	v_cmp_ne_u32_e32 vcc, s14, v7
                                        ; implicit-def: $vgpr7
	s_and_saveexec_b64 s[14:15], vcc
	s_xor_b64 s[14:15], exec, s[14:15]
; %bb.24:
	v_bfe_u32 v7, v8, 16, 1
	s_movk_i32 s16, 0x7fff
	v_add3_u32 v7, v8, v7, s16
                                        ; implicit-def: $vgpr8
; %bb.25:
	s_andn2_saveexec_b64 s[14:15], s[14:15]
; %bb.26:
	v_mov_b32_e32 v7, 0
	v_or_b32_e32 v9, 0x10000, v8
	v_cmp_eq_u32_sdwa vcc, v8, v7 src0_sel:WORD_0 src1_sel:DWORD
	v_cndmask_b32_e32 v7, v9, v8, vcc
; %bb.27:
	s_or_b64 exec, exec, s[14:15]
	global_load_dword v8, v[2:3], off offset:68
	s_mov_b32 s14, 0x7f800000
	s_waitcnt vmcnt(0)
	v_mul_f32_e32 v9, v4, v8
	v_and_b32_e32 v8, 0x7f800000, v9
	v_cmp_ne_u32_e32 vcc, s14, v8
                                        ; implicit-def: $vgpr8
	s_and_saveexec_b64 s[14:15], vcc
	s_xor_b64 s[14:15], exec, s[14:15]
; %bb.28:
	v_bfe_u32 v8, v9, 16, 1
	s_movk_i32 s16, 0x7fff
	v_add3_u32 v8, v9, v8, s16
                                        ; implicit-def: $vgpr9
; %bb.29:
	s_andn2_saveexec_b64 s[14:15], s[14:15]
; %bb.30:
	v_mov_b32_e32 v8, 0
	v_or_b32_e32 v10, 0x10000, v9
	v_cmp_eq_u32_sdwa vcc, v9, v8 src0_sel:WORD_0 src1_sel:DWORD
	v_cndmask_b32_e32 v8, v10, v9, vcc
; %bb.31:
	s_or_b64 exec, exec, s[14:15]
	global_load_dword v2, v[2:3], off offset:72
	s_mov_b32 s14, 0x7f800000
	s_waitcnt vmcnt(0)
	v_mul_f32_e32 v3, v4, v2
	v_and_b32_e32 v2, 0x7f800000, v3
	v_cmp_ne_u32_e32 vcc, s14, v2
                                        ; implicit-def: $vgpr2
	s_and_saveexec_b64 s[14:15], vcc
	s_xor_b64 s[14:15], exec, s[14:15]
; %bb.32:
	v_bfe_u32 v2, v3, 16, 1
	s_movk_i32 s16, 0x7fff
	v_add3_u32 v2, v3, v2, s16
                                        ; implicit-def: $vgpr3
; %bb.33:
	s_andn2_saveexec_b64 s[14:15], s[14:15]
; %bb.34:
	v_mov_b32_e32 v2, 0
	v_or_b32_e32 v9, 0x10000, v3
	v_cmp_eq_u32_sdwa vcc, v3, v2 src0_sel:WORD_0 src1_sel:DWORD
	v_cndmask_b32_e32 v2, v9, v3, vcc
; %bb.35:
	s_or_b64 exec, exec, s[14:15]
	v_mov_b32_e32 v3, 0x4c
	v_lshl_or_b32 v3, v40, 2, v3
	v_add_co_u32_e32 v10, vcc, v5, v3
	v_addc_co_u32_e32 v11, vcc, 0, v6, vcc
	global_load_dword v3, v[10:11], off
	s_mov_b32 s14, 0x7f800000
	s_waitcnt vmcnt(0)
	v_mul_f32_e32 v3, v4, v3
	v_and_b32_e32 v9, 0x7f800000, v3
	v_cmp_ne_u32_e32 vcc, s14, v9
                                        ; implicit-def: $vgpr9
	s_and_saveexec_b64 s[14:15], vcc
	s_xor_b64 s[14:15], exec, s[14:15]
; %bb.36:
	v_bfe_u32 v9, v3, 16, 1
	s_movk_i32 s16, 0x7fff
	v_add3_u32 v9, v3, v9, s16
                                        ; implicit-def: $vgpr3
; %bb.37:
	s_andn2_saveexec_b64 s[14:15], s[14:15]
; %bb.38:
	v_mov_b32_e32 v9, 0
	v_or_b32_e32 v10, 0x10000, v3
	v_cmp_eq_u32_sdwa vcc, v3, v9 src0_sel:WORD_0 src1_sel:DWORD
	v_cndmask_b32_e32 v9, v10, v3, vcc
; %bb.39:
	s_or_b64 exec, exec, s[14:15]
	s_mov_b32 s14, 0x7060302
	v_perm_b32 v24, v8, v7, s14
	v_perm_b32 v25, v9, v2, s14
.LBB2_40:
	s_or_b64 exec, exec, s[12:13]
	v_mov_b32_e32 v27, 0
	v_mov_b32_e32 v26, v27
	s_and_saveexec_b64 s[12:13], s[2:3]
	s_cbranch_execz .LBB2_58
; %bb.41:
	v_add_co_u32_e32 v2, vcc, v5, v41
	v_addc_co_u32_e32 v3, vcc, 0, v6, vcc
	global_load_dword v7, v[2:3], off offset:128
	s_mov_b32 s14, 0x7f800000
	s_waitcnt vmcnt(0)
	v_mul_f32_e32 v8, v4, v7
	v_and_b32_e32 v7, 0x7f800000, v8
	v_cmp_ne_u32_e32 vcc, s14, v7
                                        ; implicit-def: $vgpr7
	s_and_saveexec_b64 s[14:15], vcc
	s_xor_b64 s[14:15], exec, s[14:15]
; %bb.42:
	v_bfe_u32 v7, v8, 16, 1
	s_movk_i32 s16, 0x7fff
	v_add3_u32 v7, v8, v7, s16
                                        ; implicit-def: $vgpr8
; %bb.43:
	s_andn2_saveexec_b64 s[14:15], s[14:15]
; %bb.44:
	v_mov_b32_e32 v7, 0
	v_or_b32_e32 v9, 0x10000, v8
	v_cmp_eq_u32_sdwa vcc, v8, v7 src0_sel:WORD_0 src1_sel:DWORD
	v_cndmask_b32_e32 v7, v9, v8, vcc
; %bb.45:
	s_or_b64 exec, exec, s[14:15]
	global_load_dword v8, v[2:3], off offset:132
	s_mov_b32 s14, 0x7f800000
	s_waitcnt vmcnt(0)
	v_mul_f32_e32 v9, v4, v8
	v_and_b32_e32 v8, 0x7f800000, v9
	v_cmp_ne_u32_e32 vcc, s14, v8
                                        ; implicit-def: $vgpr8
	s_and_saveexec_b64 s[14:15], vcc
	s_xor_b64 s[14:15], exec, s[14:15]
; %bb.46:
	v_bfe_u32 v8, v9, 16, 1
	s_movk_i32 s16, 0x7fff
	v_add3_u32 v8, v9, v8, s16
                                        ; implicit-def: $vgpr9
; %bb.47:
	s_andn2_saveexec_b64 s[14:15], s[14:15]
; %bb.48:
	v_mov_b32_e32 v8, 0
	v_or_b32_e32 v10, 0x10000, v9
	v_cmp_eq_u32_sdwa vcc, v9, v8 src0_sel:WORD_0 src1_sel:DWORD
	v_cndmask_b32_e32 v8, v10, v9, vcc
; %bb.49:
	s_or_b64 exec, exec, s[14:15]
	global_load_dword v2, v[2:3], off offset:136
	s_mov_b32 s14, 0x7f800000
	s_waitcnt vmcnt(0)
	v_mul_f32_e32 v3, v4, v2
	v_and_b32_e32 v2, 0x7f800000, v3
	v_cmp_ne_u32_e32 vcc, s14, v2
                                        ; implicit-def: $vgpr2
	s_and_saveexec_b64 s[14:15], vcc
	s_xor_b64 s[14:15], exec, s[14:15]
; %bb.50:
	v_bfe_u32 v2, v3, 16, 1
	s_movk_i32 s16, 0x7fff
	v_add3_u32 v2, v3, v2, s16
                                        ; implicit-def: $vgpr3
; %bb.51:
	s_andn2_saveexec_b64 s[14:15], s[14:15]
; %bb.52:
	v_mov_b32_e32 v2, 0
	v_or_b32_e32 v9, 0x10000, v3
	v_cmp_eq_u32_sdwa vcc, v3, v2 src0_sel:WORD_0 src1_sel:DWORD
	v_cndmask_b32_e32 v2, v9, v3, vcc
; %bb.53:
	s_or_b64 exec, exec, s[14:15]
	v_mov_b32_e32 v3, 0x8c
	v_lshl_or_b32 v3, v40, 2, v3
	v_add_co_u32_e32 v10, vcc, v5, v3
	v_addc_co_u32_e32 v11, vcc, 0, v6, vcc
	global_load_dword v3, v[10:11], off
	s_mov_b32 s14, 0x7f800000
	s_waitcnt vmcnt(0)
	v_mul_f32_e32 v3, v4, v3
	v_and_b32_e32 v9, 0x7f800000, v3
	v_cmp_ne_u32_e32 vcc, s14, v9
                                        ; implicit-def: $vgpr9
	s_and_saveexec_b64 s[14:15], vcc
	s_xor_b64 s[14:15], exec, s[14:15]
; %bb.54:
	v_bfe_u32 v9, v3, 16, 1
	s_movk_i32 s16, 0x7fff
	v_add3_u32 v9, v3, v9, s16
                                        ; implicit-def: $vgpr3
; %bb.55:
	s_andn2_saveexec_b64 s[14:15], s[14:15]
; %bb.56:
	v_mov_b32_e32 v9, 0
	v_or_b32_e32 v10, 0x10000, v3
	v_cmp_eq_u32_sdwa vcc, v3, v9 src0_sel:WORD_0 src1_sel:DWORD
	v_cndmask_b32_e32 v9, v10, v3, vcc
; %bb.57:
	s_or_b64 exec, exec, s[14:15]
	s_mov_b32 s14, 0x7060302
	v_perm_b32 v26, v8, v7, s14
	v_perm_b32 v27, v9, v2, s14
.LBB2_58:
	s_or_b64 exec, exec, s[12:13]
	v_mov_b32_e32 v29, 0
	v_mov_b32_e32 v28, v29
	s_and_saveexec_b64 s[12:13], s[2:3]
	s_cbranch_execz .LBB2_76
; %bb.59:
	v_add_co_u32_e32 v2, vcc, v5, v41
	v_addc_co_u32_e32 v3, vcc, 0, v6, vcc
	global_load_dword v7, v[2:3], off offset:192
	s_mov_b32 s14, 0x7f800000
	s_waitcnt vmcnt(0)
	v_mul_f32_e32 v8, v4, v7
	v_and_b32_e32 v7, 0x7f800000, v8
	v_cmp_ne_u32_e32 vcc, s14, v7
                                        ; implicit-def: $vgpr7
	s_and_saveexec_b64 s[14:15], vcc
	s_xor_b64 s[14:15], exec, s[14:15]
; %bb.60:
	v_bfe_u32 v7, v8, 16, 1
	s_movk_i32 s16, 0x7fff
	v_add3_u32 v7, v8, v7, s16
                                        ; implicit-def: $vgpr8
; %bb.61:
	s_andn2_saveexec_b64 s[14:15], s[14:15]
; %bb.62:
	v_mov_b32_e32 v7, 0
	v_or_b32_e32 v9, 0x10000, v8
	v_cmp_eq_u32_sdwa vcc, v8, v7 src0_sel:WORD_0 src1_sel:DWORD
	v_cndmask_b32_e32 v7, v9, v8, vcc
; %bb.63:
	s_or_b64 exec, exec, s[14:15]
	global_load_dword v8, v[2:3], off offset:196
	s_mov_b32 s14, 0x7f800000
	s_waitcnt vmcnt(0)
	v_mul_f32_e32 v9, v4, v8
	v_and_b32_e32 v8, 0x7f800000, v9
	v_cmp_ne_u32_e32 vcc, s14, v8
                                        ; implicit-def: $vgpr8
	s_and_saveexec_b64 s[14:15], vcc
	s_xor_b64 s[14:15], exec, s[14:15]
; %bb.64:
	v_bfe_u32 v8, v9, 16, 1
	s_movk_i32 s16, 0x7fff
	v_add3_u32 v8, v9, v8, s16
                                        ; implicit-def: $vgpr9
; %bb.65:
	s_andn2_saveexec_b64 s[14:15], s[14:15]
; %bb.66:
	v_mov_b32_e32 v8, 0
	v_or_b32_e32 v10, 0x10000, v9
	v_cmp_eq_u32_sdwa vcc, v9, v8 src0_sel:WORD_0 src1_sel:DWORD
	v_cndmask_b32_e32 v8, v10, v9, vcc
; %bb.67:
	s_or_b64 exec, exec, s[14:15]
	global_load_dword v2, v[2:3], off offset:200
	s_mov_b32 s14, 0x7f800000
	s_waitcnt vmcnt(0)
	v_mul_f32_e32 v3, v4, v2
	v_and_b32_e32 v2, 0x7f800000, v3
	v_cmp_ne_u32_e32 vcc, s14, v2
                                        ; implicit-def: $vgpr2
	s_and_saveexec_b64 s[14:15], vcc
	s_xor_b64 s[14:15], exec, s[14:15]
; %bb.68:
	v_bfe_u32 v2, v3, 16, 1
	s_movk_i32 s16, 0x7fff
	v_add3_u32 v2, v3, v2, s16
                                        ; implicit-def: $vgpr3
; %bb.69:
	s_andn2_saveexec_b64 s[14:15], s[14:15]
; %bb.70:
	v_mov_b32_e32 v2, 0
	v_or_b32_e32 v9, 0x10000, v3
	v_cmp_eq_u32_sdwa vcc, v3, v2 src0_sel:WORD_0 src1_sel:DWORD
	v_cndmask_b32_e32 v2, v9, v3, vcc
; %bb.71:
	s_or_b64 exec, exec, s[14:15]
	v_mov_b32_e32 v3, 0xcc
	v_lshl_or_b32 v3, v40, 2, v3
	v_add_co_u32_e32 v10, vcc, v5, v3
	v_addc_co_u32_e32 v11, vcc, 0, v6, vcc
	global_load_dword v3, v[10:11], off
	s_mov_b32 s14, 0x7f800000
	s_waitcnt vmcnt(0)
	v_mul_f32_e32 v3, v4, v3
	v_and_b32_e32 v4, 0x7f800000, v3
	v_cmp_ne_u32_e32 vcc, s14, v4
                                        ; implicit-def: $vgpr4
	s_and_saveexec_b64 s[14:15], vcc
	s_xor_b64 s[14:15], exec, s[14:15]
; %bb.72:
	v_bfe_u32 v4, v3, 16, 1
	s_movk_i32 s16, 0x7fff
	v_add3_u32 v4, v3, v4, s16
                                        ; implicit-def: $vgpr3
; %bb.73:
	s_andn2_saveexec_b64 s[14:15], s[14:15]
; %bb.74:
	v_mov_b32_e32 v4, 0
	v_or_b32_e32 v5, 0x10000, v3
	v_cmp_eq_u32_sdwa vcc, v3, v4 src0_sel:WORD_0 src1_sel:DWORD
	v_cndmask_b32_e32 v4, v5, v3, vcc
; %bb.75:
	s_or_b64 exec, exec, s[14:15]
	s_mov_b32 s14, 0x7060302
	v_perm_b32 v28, v8, v7, s14
	v_perm_b32 v29, v4, v2, s14
.LBB2_76:
	s_or_b64 exec, exec, s[12:13]
	s_mov_b32 s44, 0
	s_mov_b32 s45, s44
	;; [unrolled: 1-line block ×4, first 2 shown]
	v_pk_mov_b32 v[10:11], s[44:45], s[44:45] op_sel:[0,1]
	v_pk_mov_b32 v[12:13], s[46:47], s[46:47] op_sel:[0,1]
	s_min_u32 s60, s49, 16
	v_pk_mov_b32 v[2:3], v[10:11], v[10:11] op_sel:[0,1]
	v_pk_mov_b32 v[6:7], v[10:11], v[10:11] op_sel:[0,1]
	v_pk_mov_b32 v[16:17], v[12:13], v[12:13] op_sel:[0,1]
	s_cmp_gt_i32 s58, -1
	v_cmp_gt_u32_e64 s[30:31], s49, v39
	v_cmp_eq_u32_e64 s[28:29], 0, v38
	v_or_b32_e32 v44, 1, v39
	v_or_b32_e32 v43, 2, v39
	;; [unrolled: 1-line block ×3, first 2 shown]
	v_pk_mov_b32 v[4:5], v[12:13], v[12:13] op_sel:[0,1]
	v_pk_mov_b32 v[8:9], v[12:13], v[12:13] op_sel:[0,1]
	;; [unrolled: 1-line block ×3, first 2 shown]
	s_cbranch_scc0 .LBB2_262
; %bb.77:
	s_load_dword s4, s[4:5], 0x80
	s_mul_i32 s14, s59, s48
	s_mul_hi_i32 s13, s59, s48
	s_mul_hi_u32 s15, s14, s7
	s_mul_i32 s13, s13, s7
	s_waitcnt lgkmcnt(0)
	s_add_i32 s5, s4, -1
	s_cmp_lt_u32 s5, 16
	s_cselect_b32 s61, s4, 16
	s_add_i32 s4, s59, -1
	s_add_i32 s62, s58, 1
	s_and_b32 s4, s59, s4
	s_cmp_lg_u32 s4, 0
	s_cselect_b64 s[46:47], -1, 0
	s_ashr_i32 s12, s7, 31
	s_mul_i32 s12, s14, s12
	s_add_i32 s12, s15, s12
	v_mbcnt_lo_u32_b32 v2, -1, 0
	s_ashr_i32 s5, s48, 31
	s_add_i32 s12, s12, s13
	s_mul_i32 s14, s14, s7
	v_mbcnt_hi_u32_b32 v2, -1, v2
	s_add_u32 s10, s14, s10
	v_lshlrev_b32_e32 v4, 2, v2
	v_lshlrev_b32_e32 v5, 5, v38
	s_addc_u32 s11, s12, s11
	v_and_b32_e32 v47, 0x1c0, v4
	v_lshlrev_b32_e32 v4, 1, v39
	v_or_b32_e32 v6, 0x800, v5
	v_lshlrev_b32_e32 v7, 1, v42
	s_lshl_b64 s[10:11], s[10:11], 2
	v_or_b32_e32 v48, v6, v4
	v_add_u32_e32 v49, v6, v7
	v_lshlrev_b32_e32 v6, 5, v0
	s_add_u32 s12, s36, s10
	v_or_b32_e32 v8, 0x600, v6
	s_addc_u32 s13, s37, s11
	v_add_u32_e32 v8, 0x800, v8
	s_add_u32 s10, s38, s10
	v_or_b32_e32 v50, v8, v4
	v_add_u32_e32 v51, v8, v7
	v_mov_b32_e32 v8, s13
	v_add_co_u32_e32 v52, vcc, s12, v1
	s_addc_u32 s11, s39, s11
	v_addc_co_u32_e32 v53, vcc, 0, v8, vcc
	v_mov_b32_e32 v8, s11
	v_add_co_u32_e32 v54, vcc, s10, v1
	v_addc_co_u32_e32 v55, vcc, 0, v8, vcc
	v_lshlrev_b32_e32 v8, 1, v40
	v_and_b32_e32 v3, 15, v2
	v_lshlrev_b32_e32 v1, 7, v38
	v_or_b32_e32 v9, 38, v8
	v_add_u32_e32 v58, v1, v9
	v_or_b32_e32 v9, 0x46, v8
	v_or_b32_e32 v8, 0x66, v8
	v_cmp_gt_u32_e32 vcc, 8, v3
	v_or_b32_e32 v56, v1, v4
	v_add_u32_e32 v57, v1, v7
	v_add_u32_e32 v59, v1, v9
	;; [unrolled: 1-line block ×3, first 2 shown]
	v_cndmask_b32_e64 v1, 0, 1, vcc
	s_mov_b32 s4, s48
	s_ashr_i32 s7, s6, 31
	v_lshlrev_b32_e32 v1, 3, v1
	v_cmp_gt_u32_e32 vcc, 12, v3
	s_lshl_b64 s[36:37], s[6:7], 8
	s_lshl_b64 s[38:39], s[4:5], 2
	v_add_lshl_u32 v61, v1, v2, 2
	v_cndmask_b32_e64 v1, 0, 1, vcc
	s_cmp_lg_u32 s8, 0
	v_lshlrev_b32_e32 v1, 2, v1
	v_cmp_gt_u32_e32 vcc, 14, v3
	s_cselect_b64 s[54:55], -1, 0
	s_ashr_i32 s4, s9, 31
	v_add_lshl_u32 v62, v1, v2, 2
	v_cndmask_b32_e64 v1, 0, 1, vcc
	s_mul_hi_u32 s5, s58, s9
	s_mul_i32 s4, s58, s4
	v_lshlrev_b32_e32 v1, 1, v1
	v_cmp_ne_u32_e32 vcc, 15, v3
	s_add_i32 s5, s5, s4
	s_mul_i32 s4, s58, s9
	v_add_lshl_u32 v63, v1, v2, 2
	v_addc_co_u32_e32 v1, vcc, 0, v2, vcc
	s_add_i32 s48, s59, 0x7fffffff
	s_lshl_b64 s[4:5], s[4:5], 2
	v_lshlrev_b32_e32 v64, 2, v1
	v_lshlrev_b32_e32 v1, 2, v40
	s_add_u32 s63, s40, s4
	s_movk_i32 s4, 0x100
	v_add_u32_e32 v66, 0x1200, v1
	v_add_u32_e32 v67, 0x1280, v1
	v_lshlrev_b32_e32 v1, 2, v42
	v_cmp_gt_u32_e64 s[8:9], s4, v0
	v_add_u32_e32 v68, 0x1280, v1
	v_add_u32_e32 v69, 0x1300, v1
	;; [unrolled: 1-line block ×5, first 2 shown]
	v_lshlrev_b32_e32 v1, 1, v38
	v_lshlrev_b32_e32 v2, 5, v39
	s_movk_i32 s4, 0x1000
	s_addc_u32 s64, s41, s5
	v_or3_b32 v73, v2, v1, s4
	v_lshl_or_b32 v1, v42, 5, v1
	s_abs_i32 s65, s59
	v_add_u32_e32 v74, 0x1000, v1
	v_cvt_f32_u32_e32 v1, s65
	v_or_b32_e32 v2, 0x1000, v5
	v_or_b32_e32 v75, v2, v4
	v_add_u32_e32 v76, v2, v7
	v_rcp_iflag_f32_e32 v2, v1
	s_sub_i32 s4, 0, s65
	v_mov_b32_e32 v45, 0x12c0
	v_mov_b32_e32 v79, 0
	v_mul_f32_e32 v2, 0x4f7ffffe, v2
	v_cvt_u32_f32_e32 v2, v2
	v_lshl_or_b32 v46, v38, 2, v45
	v_cmp_le_u32_e64 s[10:11], s49, v39
	v_cmp_gt_u32_e64 s[12:13], s60, v44
	v_mul_lo_u32 v3, s4, v2
	v_mul_hi_u32 v3, v2, v3
	v_cmp_le_u32_e64 s[14:15], s60, v44
	v_cmp_gt_u32_e64 s[16:17], s60, v43
	v_cmp_le_u32_e64 s[18:19], s60, v43
	v_cmp_gt_u32_e64 s[20:21], s60, v42
	v_cmp_le_u32_e64 s[22:23], s60, v42
	v_or_b32_e32 v65, 0x1200, v41
	v_cmp_gt_u32_e64 s[24:25], 64, v0
	v_or_b32_e32 v1, 64, v0
	s_mov_b32 s66, s38
	s_mov_b32 s67, s39
	;; [unrolled: 1-line block ×4, first 2 shown]
	v_add_u32_e32 v77, v2, v3
	v_add_u32_e32 v78, 0x800, v6
	s_mov_b32 s70, 0x7f800000
	s_movk_i32 s71, 0x7fff
	s_mov_b32 s72, 0xffff
	s_mov_b32 s73, 0x7060302
	;; [unrolled: 1-line block ×7, first 2 shown]
	v_mov_b32_e32 v10, 0
	v_mov_b32_e32 v11, v79
	;; [unrolled: 1-line block ×16, first 2 shown]
	v_or_b32_e32 v80, 0x1280, v41
	v_or_b32_e32 v81, 0x1300, v41
	v_or_b32_e32 v82, 0x1340, v41
	v_or_b32_e32 v83, 0x1240, v41
	v_lshlrev_b32_e32 v84, 1, v0
	v_mov_b32_e32 v31, 0
	s_branch .LBB2_79
.LBB2_78:                               ;   in Loop: Header=BB2_79 Depth=1
	s_or_b64 exec, exec, s[4:5]
	v_mul_f32_e32 v10, v10, v85
	v_mul_f32_e32 v11, v11, v86
	;; [unrolled: 1-line block ×16, first 2 shown]
	v_mfma_f32_16x16x16bf16_1k v[10:13], v[18:19], v[20:21], v[10:13]
	s_add_i32 s78, s78, s61
	s_add_i32 s77, s77, 1
	s_sub_i32 s76, s76, s61
	s_cmp_gt_i32 s78, s58
	s_barrier
	v_mfma_f32_16x16x16bf16_1k v[2:5], v[18:19], v[32:33], v[2:5]
	v_mfma_f32_16x16x16bf16_1k v[6:9], v[18:19], v[34:35], v[6:9]
	;; [unrolled: 1-line block ×3, first 2 shown]
	s_cbranch_scc1 .LBB2_262
.LBB2_79:                               ; =>This Loop Header: Depth=1
                                        ;     Child Loop BB2_95 Depth 2
                                        ;     Child Loop BB2_100 Depth 2
	s_sub_i32 s4, s62, s78
	s_min_i32 s79, s4, s61
	v_cmp_le_i32_e64 s[40:41], s79, v38
	v_cmp_gt_i32_e64 s[26:27], s79, v38
	v_add_u32_e32 v30, s78, v38
	s_mov_b64 s[6:7], 0
                                        ; implicit-def: $vgpr18
	s_and_saveexec_b64 s[4:5], s[26:27]
	s_xor_b64 s[4:5], exec, s[4:5]
	s_cbranch_execz .LBB2_85
; %bb.80:                               ;   in Loop: Header=BB2_79 Depth=1
	s_andn2_b64 vcc, exec, s[54:55]
	v_mov_b32_e32 v18, v30
	s_cbranch_vccnz .LBB2_89
; %bb.81:                               ;   in Loop: Header=BB2_79 Depth=1
	s_and_b64 vcc, exec, s[46:47]
	s_cbranch_vccz .LBB2_87
; %bb.82:                               ;   in Loop: Header=BB2_79 Depth=1
	v_cmp_le_i32_e32 vcc, s59, v30
	v_mov_b32_e32 v18, v30
	s_and_saveexec_b64 s[6:7], vcc
; %bb.83:                               ;   in Loop: Header=BB2_79 Depth=1
	v_mul_hi_u32 v18, v30, v77
	v_mul_lo_u32 v18, v18, s65
	v_sub_u32_e32 v18, v30, v18
	v_subrev_u32_e32 v19, s65, v18
	v_cmp_le_u32_e32 vcc, s65, v18
	v_cndmask_b32_e32 v18, v18, v19, vcc
	v_subrev_u32_e32 v19, s65, v18
	v_cmp_le_u32_e32 vcc, s65, v18
	v_cndmask_b32_e32 v18, v18, v19, vcc
; %bb.84:                               ;   in Loop: Header=BB2_79 Depth=1
	s_or_b64 exec, exec, s[6:7]
	s_cbranch_execz .LBB2_88
	s_branch .LBB2_89
.LBB2_85:                               ;   in Loop: Header=BB2_79 Depth=1
	s_andn2_saveexec_b64 s[4:5], s[4:5]
	s_cbranch_execz .LBB2_90
.LBB2_86:                               ;   in Loop: Header=BB2_79 Depth=1
	s_andn2_b64 s[6:7], s[6:7], exec
	s_and_b64 s[34:35], s[0:1], exec
	v_mov_b32_e32 v18, 0
	s_or_b64 s[6:7], s[6:7], s[34:35]
	s_or_b64 exec, exec, s[4:5]
	s_and_saveexec_b64 s[4:5], s[6:7]
	s_cbranch_execnz .LBB2_91
	s_branch .LBB2_92
.LBB2_87:                               ;   in Loop: Header=BB2_79 Depth=1
                                        ; implicit-def: $vgpr18
.LBB2_88:                               ;   in Loop: Header=BB2_79 Depth=1
	v_and_b32_e32 v18, s48, v30
.LBB2_89:                               ;   in Loop: Header=BB2_79 Depth=1
	s_and_b64 s[6:7], s[0:1], exec
	s_andn2_saveexec_b64 s[4:5], s[4:5]
	s_cbranch_execnz .LBB2_86
.LBB2_90:                               ;   in Loop: Header=BB2_79 Depth=1
	s_or_b64 exec, exec, s[4:5]
	s_and_saveexec_b64 s[4:5], s[6:7]
	s_cbranch_execz .LBB2_92
.LBB2_91:                               ;   in Loop: Header=BB2_79 Depth=1
	ds_write_b32 v46, v18
.LBB2_92:                               ;   in Loop: Header=BB2_79 Depth=1
	s_or_b64 exec, exec, s[4:5]
	s_min_i32 s80, s79, 16
	s_lshl_b32 s45, s80, 6
	v_cmp_gt_i32_e32 vcc, s45, v0
	s_waitcnt lgkmcnt(0)
	s_barrier
	s_and_saveexec_b64 s[56:57], vcc
	s_cbranch_execz .LBB2_108
; %bb.93:                               ;   in Loop: Header=BB2_79 Depth=1
	s_mul_i32 s4, s61, s77
	s_sub_i32 s4, s62, s4
	v_mov_b32_e32 v18, s4
	v_min3_i32 v18, s61, v18, 16
	v_readfirstlane_b32 s4, v18
	s_add_i32 s4, s4, -1
	s_and_b32 s81, s4, 0x3ffffff
	s_cmp_lg_u32 s81, 0
	s_cbranch_scc0 .LBB2_97
; %bb.94:                               ;   in Loop: Header=BB2_79 Depth=1
	v_mov_b32_e32 v18, s76
	v_min3_i32 v18, s61, v18, 16
	v_readfirstlane_b32 s4, v18
	s_add_i32 s4, s4, -1
	s_and_b32 s4, s4, 0x3ffffff
	s_add_i32 s4, s4, 1
	s_and_b32 s82, s4, 0x7fffffe
	v_pk_mov_b32 v[18:19], v[0:1], v[0:1] op_sel:[0,1]
.LBB2_95:                               ;   Parent Loop BB2_79 Depth=1
                                        ; =>  This Inner Loop Header: Depth=2
	v_lshrrev_b32_e32 v85, 6, v18
	v_lshl_add_u32 v34, v85, 2, v45
	ds_read2_b32 v[34:35], v34 offset1:1
	v_mov_b32_e32 v20, s68
	v_mov_b32_e32 v21, s69
	;; [unrolled: 1-line block ×4, first 2 shown]
	s_waitcnt lgkmcnt(0)
	v_ashrrev_i32_e32 v37, 31, v35
	v_ashrrev_i32_e32 v36, 31, v34
	v_mad_u64_u32 v[20:21], s[4:5], s66, v35, v[20:21]
	v_mul_lo_u32 v35, s67, v35
	v_mul_lo_u32 v37, s66, v37
	v_mad_u64_u32 v[32:33], s[4:5], s38, v34, v[32:33]
	v_mul_lo_u32 v86, s39, v34
	v_mul_lo_u32 v87, s38, v36
	v_add_co_u32_e32 v34, vcc, v52, v20
	v_add_co_u32_e64 v20, s[6:7], v54, v20
	v_add3_u32 v21, v35, v21, v37
	v_add_co_u32_e64 v36, s[4:5], v54, v32
	v_add_co_u32_e64 v32, s[34:35], v52, v32
	v_add3_u32 v37, v86, v33, v87
	v_addc_co_u32_e32 v35, vcc, v53, v21, vcc
	v_addc_co_u32_e64 v21, vcc, v55, v21, s[6:7]
	v_addc_co_u32_e64 v33, s[34:35], v53, v37, s[34:35]
	v_addc_co_u32_e64 v37, vcc, v55, v37, s[4:5]
	global_load_dword v34, v[34:35], off
	s_nop 0
	global_load_dword v35, v[36:37], off
	s_nop 0
	;; [unrolled: 2-line block ×3, first 2 shown]
	global_load_dword v21, v[32:33], off
	v_lshl_add_u32 v33, v85, 7, v84
	v_lshlrev_b32_e32 v36, 1, v85
	v_lshlrev_b32_e32 v32, 1, v19
	s_add_i32 s82, s82, -2
	v_add_u32_e32 v19, 0x80, v19
	v_add_u32_e32 v18, 0x80, v18
	v_and_b32_e32 v32, 0xffffff80, v32
	s_cmp_lg_u32 s82, 0
	v_add_u32_e32 v32, v32, v84
	v_lshl_add_u32 v36, v0, 5, v36
	s_waitcnt vmcnt(3)
	v_bfe_u32 v86, v34, 16, 1
	v_or_b32_e32 v88, 0x10000, v34
	v_cmp_eq_u32_sdwa vcc, v34, v79 src0_sel:WORD_0 src1_sel:DWORD
	s_waitcnt vmcnt(0)
	v_and_b32_e32 v85, 0x7f800000, v21
	v_bfe_u32 v87, v21, 16, 1
	v_or_b32_e32 v89, 0x10000, v21
	v_and_b32_e32 v90, 0x7f800000, v35
	v_and_b32_e32 v91, 0x7f800000, v20
	v_bfe_u32 v92, v35, 16, 1
	v_bfe_u32 v93, v20, 16, 1
	v_or_b32_e32 v94, 0x10000, v35
	v_cmp_eq_u32_sdwa s[4:5], v35, v79 src0_sel:WORD_0 src1_sel:DWORD
	v_or_b32_e32 v95, 0x10000, v20
	v_cmp_eq_u32_sdwa s[6:7], v20, v79 src0_sel:WORD_0 src1_sel:DWORD
	v_cmp_eq_u32_sdwa s[34:35], v21, v79 src0_sel:WORD_0 src1_sel:DWORD
	v_and_b32_e32 v37, 0x7f800000, v34
	v_add3_u32 v87, v21, v87, s71
	v_cndmask_b32_e64 v21, v89, v21, s[34:35]
	v_cmp_eq_u32_e64 s[34:35], s70, v85
	v_add3_u32 v85, v34, v86, s71
	v_cndmask_b32_e32 v34, v88, v34, vcc
	v_add3_u32 v86, v20, v93, s71
	v_cndmask_b32_e64 v20, v95, v20, s[6:7]
	v_cmp_eq_u32_e32 vcc, s70, v91
	v_add3_u32 v88, v35, v92, s71
	v_cndmask_b32_e64 v35, v94, v35, s[4:5]
	v_cmp_eq_u32_e64 s[4:5], s70, v90
	v_cmp_eq_u32_e64 s[6:7], s70, v37
	v_cndmask_b32_e64 v21, v87, v21, s[34:35]
	v_cndmask_b32_e64 v35, v88, v35, s[4:5]
	v_cndmask_b32_e32 v20, v86, v20, vcc
	v_cndmask_b32_e64 v34, v85, v34, s[6:7]
	v_perm_b32 v20, v20, v35, s73
	ds_write_b16_d16_hi v33, v21
	ds_write_b16_d16_hi v32, v34
	ds_write_b32 v36, v20 offset:2048
	s_cbranch_scc1 .LBB2_95
; %bb.96:                               ;   in Loop: Header=BB2_79 Depth=1
	s_add_i32 s81, s81, 1
	s_and_b32 s4, s81, 0x7fffffe
	s_cmp_lg_u32 s81, s4
	v_lshl_or_b32 v18, s4, 6, v0
	s_cselect_b64 s[4:5], -1, 0
	s_and_b64 vcc, exec, s[4:5]
	s_cbranch_vccnz .LBB2_98
	s_branch .LBB2_108
.LBB2_97:                               ;   in Loop: Header=BB2_79 Depth=1
	v_mov_b32_e32 v18, v0
	s_cbranch_execz .LBB2_108
.LBB2_98:                               ;   in Loop: Header=BB2_79 Depth=1
	v_lshrrev_b32_e32 v21, 6, v18
	v_lshl_add_u32 v19, v21, 1, v78
	v_lshl_add_u32 v20, v21, 7, v84
	;; [unrolled: 1-line block ×3, first 2 shown]
	s_mov_b64 s[4:5], 0
	s_branch .LBB2_100
.LBB2_99:                               ;   in Loop: Header=BB2_100 Depth=2
	s_or_b64 exec, exec, s[6:7]
	v_add_u32_e32 v18, 64, v18
	v_cmp_le_i32_e32 vcc, s45, v18
	ds_write_b16_d16_hi v20, v33
	ds_write_b16_d16_hi v19, v34
	v_add_u32_e32 v19, 2, v19
	v_add_u32_e32 v20, 0x80, v20
	s_or_b64 s[4:5], vcc, s[4:5]
	v_add_u32_e32 v21, 4, v21
	s_andn2_b64 exec, exec, s[4:5]
	s_cbranch_execz .LBB2_108
.LBB2_100:                              ;   Parent Loop BB2_79 Depth=1
                                        ; =>  This Inner Loop Header: Depth=2
	ds_read_b32 v34, v21
	v_pk_mov_b32 v[32:33], s[36:37], s[36:37] op_sel:[0,1]
	s_waitcnt lgkmcnt(0)
	v_ashrrev_i32_e32 v35, 31, v34
	v_mad_u64_u32 v[32:33], s[6:7], s38, v34, v[32:33]
	v_mul_lo_u32 v34, s39, v34
	v_mul_lo_u32 v35, s38, v35
	v_add3_u32 v33, v34, v33, v35
	v_add_co_u32_e32 v34, vcc, v52, v32
	v_addc_co_u32_e32 v35, vcc, v53, v33, vcc
	global_load_dword v34, v[34:35], off
	v_add_co_u32_e32 v32, vcc, v54, v32
	v_addc_co_u32_e32 v33, vcc, v55, v33, vcc
	global_load_dword v32, v[32:33], off
	s_waitcnt vmcnt(1)
	v_and_b32_e32 v33, 0x7f800000, v34
	v_cmp_ne_u32_e32 vcc, s70, v33
                                        ; implicit-def: $vgpr33
	s_and_saveexec_b64 s[6:7], vcc
	s_xor_b64 s[6:7], exec, s[6:7]
; %bb.101:                              ;   in Loop: Header=BB2_100 Depth=2
	v_bfe_u32 v33, v34, 16, 1
	v_add3_u32 v33, v34, v33, s71
                                        ; implicit-def: $vgpr34
; %bb.102:                              ;   in Loop: Header=BB2_100 Depth=2
	s_andn2_saveexec_b64 s[6:7], s[6:7]
; %bb.103:                              ;   in Loop: Header=BB2_100 Depth=2
	v_or_b32_e32 v33, 0x10000, v34
	v_cmp_eq_u32_sdwa vcc, v34, v79 src0_sel:WORD_0 src1_sel:DWORD
	v_cndmask_b32_e32 v33, v33, v34, vcc
; %bb.104:                              ;   in Loop: Header=BB2_100 Depth=2
	s_or_b64 exec, exec, s[6:7]
	s_waitcnt vmcnt(0)
	v_and_b32_e32 v34, 0x7f800000, v32
	v_cmp_ne_u32_e32 vcc, s70, v34
                                        ; implicit-def: $vgpr34
	s_and_saveexec_b64 s[6:7], vcc
	s_xor_b64 s[6:7], exec, s[6:7]
; %bb.105:                              ;   in Loop: Header=BB2_100 Depth=2
	v_bfe_u32 v34, v32, 16, 1
	v_add3_u32 v34, v32, v34, s71
                                        ; implicit-def: $vgpr32
; %bb.106:                              ;   in Loop: Header=BB2_100 Depth=2
	s_andn2_saveexec_b64 s[6:7], s[6:7]
	s_cbranch_execz .LBB2_99
; %bb.107:                              ;   in Loop: Header=BB2_100 Depth=2
	v_or_b32_e32 v34, 0x10000, v32
	v_cmp_eq_u32_sdwa vcc, v32, v79 src0_sel:WORD_0 src1_sel:DWORD
	v_cndmask_b32_e32 v34, v34, v32, vcc
	s_branch .LBB2_99
.LBB2_108:                              ;   in Loop: Header=BB2_79 Depth=1
	s_or_b64 exec, exec, s[56:57]
	v_mov_b32_e32 v32, 0
	v_mov_b32_e32 v18, 0
	;; [unrolled: 1-line block ×3, first 2 shown]
	s_waitcnt lgkmcnt(0)
	s_barrier
	s_and_saveexec_b64 s[4:5], s[26:27]
	s_cbranch_execz .LBB2_112
; %bb.109:                              ;   in Loop: Header=BB2_79 Depth=1
	ds_read_u16 v19, v56 offset:4
	ds_read_b32 v18, v56
	s_waitcnt lgkmcnt(1)
	v_and_b32_e32 v19, 0xffff, v19
	s_and_saveexec_b64 s[6:7], s[8:9]
	s_cbranch_execz .LBB2_111
; %bb.110:                              ;   in Loop: Header=BB2_79 Depth=1
	ds_read_u16 v20, v57
	s_waitcnt lgkmcnt(0)
	v_perm_b32 v19, v20, v19, s74
.LBB2_111:                              ;   in Loop: Header=BB2_79 Depth=1
	s_or_b64 exec, exec, s[6:7]
.LBB2_112:                              ;   in Loop: Header=BB2_79 Depth=1
	s_or_b64 exec, exec, s[4:5]
	s_waitcnt lgkmcnt(0)
	v_mfma_f32_16x16x16bf16_1k v[18:21], v[22:23], v[18:19], 0
	v_mov_b32_e32 v33, 0
	s_and_saveexec_b64 s[4:5], s[26:27]
	s_cbranch_execz .LBB2_116
; %bb.113:                              ;   in Loop: Header=BB2_79 Depth=1
	ds_read_u16 v33, v56 offset:36
	ds_read_b32 v32, v56 offset:32
	s_waitcnt lgkmcnt(1)
	v_and_b32_e32 v33, 0xffff, v33
	s_and_saveexec_b64 s[6:7], s[8:9]
	s_cbranch_execz .LBB2_115
; %bb.114:                              ;   in Loop: Header=BB2_79 Depth=1
	ds_read_u16 v34, v58
	s_waitcnt lgkmcnt(0)
	v_perm_b32 v33, v34, v33, s74
.LBB2_115:                              ;   in Loop: Header=BB2_79 Depth=1
	s_or_b64 exec, exec, s[6:7]
.LBB2_116:                              ;   in Loop: Header=BB2_79 Depth=1
	s_or_b64 exec, exec, s[4:5]
	s_waitcnt lgkmcnt(0)
	v_mfma_f32_16x16x16bf16_1k v[18:21], v[24:25], v[32:33], v[18:21]
	v_mov_b32_e32 v34, 0
	v_mov_b32_e32 v36, 0
	;; [unrolled: 1-line block ×3, first 2 shown]
	s_and_saveexec_b64 s[4:5], s[26:27]
	s_cbranch_execz .LBB2_120
; %bb.117:                              ;   in Loop: Header=BB2_79 Depth=1
	ds_read_u16 v32, v56 offset:68
	ds_read_b32 v36, v56 offset:64
	s_waitcnt lgkmcnt(1)
	v_and_b32_e32 v37, 0xffff, v32
	s_and_saveexec_b64 s[6:7], s[8:9]
	s_cbranch_execz .LBB2_119
; %bb.118:                              ;   in Loop: Header=BB2_79 Depth=1
	ds_read_u16 v32, v59
	s_waitcnt lgkmcnt(0)
	v_perm_b32 v37, v32, v37, s74
.LBB2_119:                              ;   in Loop: Header=BB2_79 Depth=1
	s_or_b64 exec, exec, s[6:7]
.LBB2_120:                              ;   in Loop: Header=BB2_79 Depth=1
	s_or_b64 exec, exec, s[4:5]
	s_waitcnt lgkmcnt(0)
	v_mfma_f32_16x16x16bf16_1k v[18:21], v[26:27], v[36:37], v[18:21]
	v_mov_b32_e32 v35, 0
	s_and_saveexec_b64 s[4:5], s[26:27]
	s_cbranch_execz .LBB2_124
; %bb.121:                              ;   in Loop: Header=BB2_79 Depth=1
	ds_read_u16 v32, v56 offset:100
	ds_read_b32 v34, v56 offset:96
	s_waitcnt lgkmcnt(1)
	v_and_b32_e32 v35, 0xffff, v32
	s_and_saveexec_b64 s[6:7], s[8:9]
	s_cbranch_execz .LBB2_123
; %bb.122:                              ;   in Loop: Header=BB2_79 Depth=1
	ds_read_u16 v32, v60
	s_waitcnt lgkmcnt(0)
	v_perm_b32 v35, v32, v35, s74
.LBB2_123:                              ;   in Loop: Header=BB2_79 Depth=1
	s_or_b64 exec, exec, s[6:7]
.LBB2_124:                              ;   in Loop: Header=BB2_79 Depth=1
	s_or_b64 exec, exec, s[4:5]
	s_waitcnt lgkmcnt(0)
	v_mfma_f32_16x16x16bf16_1k v[18:21], v[28:29], v[34:35], v[18:21]
	v_mov_b32_e32 v36, 0
	s_and_saveexec_b64 s[4:5], s[26:27]
	s_cbranch_execz .LBB2_126
; %bb.125:                              ;   in Loop: Header=BB2_79 Depth=1
	v_lshlrev_b64 v[32:33], 2, v[30:31]
	v_mov_b32_e32 v30, s64
	v_add_co_u32_e32 v32, vcc, s63, v32
	v_addc_co_u32_e32 v33, vcc, v30, v33, vcc
	global_load_dword v36, v[32:33], off
.LBB2_126:                              ;   in Loop: Header=BB2_79 Depth=1
	s_or_b64 exec, exec, s[4:5]
	s_mov_b64 s[4:5], s[40:41]
                                        ; implicit-def: $vgpr32
	s_and_saveexec_b64 s[6:7], s[26:27]
	s_cbranch_execz .LBB2_128
; %bb.127:                              ;   in Loop: Header=BB2_79 Depth=1
	s_andn2_b64 s[4:5], s[40:41], exec
	s_and_b64 s[34:35], s[10:11], exec
	s_waitcnt vmcnt(0)
	s_nop 0
	v_add_f32_e32 v32, v36, v18
	s_or_b64 s[4:5], s[4:5], s[34:35]
	s_or_b64 exec, exec, s[6:7]
	s_and_saveexec_b64 s[6:7], s[4:5]
	s_branch .LBB2_129
.LBB2_128:                              ;   in Loop: Header=BB2_79 Depth=1
	s_or_b64 exec, exec, s[6:7]
	s_and_saveexec_b64 s[6:7], s[4:5]
.LBB2_129:                              ;   in Loop: Header=BB2_79 Depth=1
	v_mov_b32_e32 v32, 0xff800000
; %bb.130:                              ;   in Loop: Header=BB2_79 Depth=1
	s_or_b64 exec, exec, s[6:7]
	s_mov_b64 s[4:5], s[40:41]
                                        ; implicit-def: $vgpr18
	s_and_saveexec_b64 s[6:7], s[26:27]
	s_cbranch_execz .LBB2_132
; %bb.131:                              ;   in Loop: Header=BB2_79 Depth=1
	s_andn2_b64 s[4:5], s[40:41], exec
	s_and_b64 s[34:35], s[14:15], exec
	s_waitcnt vmcnt(0)
	v_add_f32_e32 v18, v36, v19
	s_or_b64 s[4:5], s[4:5], s[34:35]
	s_or_b64 exec, exec, s[6:7]
	s_and_saveexec_b64 s[6:7], s[4:5]
	s_branch .LBB2_133
.LBB2_132:                              ;   in Loop: Header=BB2_79 Depth=1
	s_or_b64 exec, exec, s[6:7]
	s_and_saveexec_b64 s[6:7], s[4:5]
.LBB2_133:                              ;   in Loop: Header=BB2_79 Depth=1
	v_mov_b32_e32 v18, 0xff800000
; %bb.134:                              ;   in Loop: Header=BB2_79 Depth=1
	s_or_b64 exec, exec, s[6:7]
	s_mov_b64 s[4:5], s[40:41]
                                        ; implicit-def: $vgpr33
	s_and_saveexec_b64 s[6:7], s[26:27]
	s_cbranch_execz .LBB2_136
; %bb.135:                              ;   in Loop: Header=BB2_79 Depth=1
	s_andn2_b64 s[4:5], s[40:41], exec
	s_and_b64 s[34:35], s[18:19], exec
	s_waitcnt vmcnt(0)
	v_add_f32_e32 v33, v36, v20
	s_or_b64 s[4:5], s[4:5], s[34:35]
	s_or_b64 exec, exec, s[6:7]
	s_and_saveexec_b64 s[6:7], s[4:5]
	s_branch .LBB2_137
.LBB2_136:                              ;   in Loop: Header=BB2_79 Depth=1
	s_or_b64 exec, exec, s[6:7]
	s_and_saveexec_b64 s[6:7], s[4:5]
.LBB2_137:                              ;   in Loop: Header=BB2_79 Depth=1
	v_mov_b32_e32 v33, 0xff800000
; %bb.138:                              ;   in Loop: Header=BB2_79 Depth=1
	s_or_b64 exec, exec, s[6:7]
	s_mov_b64 s[4:5], s[40:41]
                                        ; implicit-def: $vgpr30
	s_and_saveexec_b64 s[6:7], s[26:27]
	s_cbranch_execz .LBB2_140
; %bb.139:                              ;   in Loop: Header=BB2_79 Depth=1
	s_andn2_b64 s[4:5], s[40:41], exec
	s_and_b64 s[34:35], s[22:23], exec
	s_waitcnt vmcnt(0)
	v_add_f32_e32 v30, v36, v21
	s_or_b64 s[4:5], s[4:5], s[34:35]
	s_or_b64 exec, exec, s[6:7]
	s_and_saveexec_b64 s[6:7], s[4:5]
	s_cbranch_execnz .LBB2_141
	s_branch .LBB2_142
.LBB2_140:                              ;   in Loop: Header=BB2_79 Depth=1
	s_or_b64 exec, exec, s[6:7]
	s_and_saveexec_b64 s[6:7], s[4:5]
.LBB2_141:                              ;   in Loop: Header=BB2_79 Depth=1
	v_mov_b32_e32 v30, 0xff800000
.LBB2_142:                              ;   in Loop: Header=BB2_79 Depth=1
	s_or_b64 exec, exec, s[6:7]
	ds_bpermute_b32 v19, v61, v32
	v_max_f32_e32 v20, v32, v32
	ds_bpermute_b32 v21, v61, v18
	v_max_f32_e32 v34, v18, v18
	ds_bpermute_b32 v35, v61, v33
	s_waitcnt lgkmcnt(2)
	v_max_f32_e32 v19, v19, v19
	v_max_f32_e32 v19, v20, v19
	ds_bpermute_b32 v20, v62, v19
	s_waitcnt lgkmcnt(2)
	v_max_f32_e32 v21, v21, v21
	v_max_f32_e32 v21, v34, v21
	ds_bpermute_b32 v34, v62, v21
	ds_bpermute_b32 v37, v61, v30
	s_waitcnt lgkmcnt(2)
	v_max_f32_e32 v20, v20, v20
	v_max_f32_e32 v19, v19, v20
	ds_bpermute_b32 v20, v63, v19
	s_waitcnt lgkmcnt(2)
	v_max_f32_e32 v34, v34, v34
	v_max_f32_e32 v21, v21, v34
	ds_bpermute_b32 v34, v63, v21
	s_waitcnt vmcnt(0)
	v_max_f32_e32 v36, v33, v33
	s_waitcnt lgkmcnt(1)
	v_max_f32_e32 v20, v20, v20
	v_max_f32_e32 v19, v19, v20
	ds_bpermute_b32 v20, v64, v19
	v_max_f32_e32 v35, v35, v35
	s_waitcnt lgkmcnt(1)
	v_max_f32_e32 v34, v34, v34
	v_max_f32_e32 v34, v21, v34
	ds_bpermute_b32 v85, v64, v34
	s_waitcnt lgkmcnt(1)
	v_max_f32_e32 v20, v20, v20
	v_max_f32_e32 v19, v19, v20
	ds_bpermute_b32 v21, v47, v19
	v_max_f32_e32 v19, v36, v35
	ds_bpermute_b32 v20, v62, v19
	v_max_f32_e32 v35, v37, v37
	v_max_f32_e32 v36, v30, v30
	;; [unrolled: 1-line block ×3, first 2 shown]
	ds_bpermute_b32 v36, v62, v35
	s_waitcnt lgkmcnt(1)
	v_max_f32_e32 v20, v20, v20
	v_max_f32_e32 v19, v19, v20
	ds_bpermute_b32 v20, v63, v19
	v_max_f32_e32 v37, v85, v85
	s_waitcnt lgkmcnt(1)
	v_max_f32_e32 v36, v36, v36
	v_max_f32_e32 v35, v35, v36
	ds_bpermute_b32 v36, v63, v35
	s_waitcnt lgkmcnt(1)
	v_max_f32_e32 v20, v20, v20
	v_max_f32_e32 v19, v19, v20
	ds_bpermute_b32 v20, v64, v19
	v_max_f32_e32 v34, v34, v37
	s_waitcnt lgkmcnt(1)
	v_max_f32_e32 v36, v36, v36
	v_max_f32_e32 v35, v35, v36
	ds_bpermute_b32 v36, v64, v35
	s_waitcnt lgkmcnt(1)
	v_max_f32_e32 v20, v20, v20
	v_max_f32_e32 v19, v19, v20
	ds_bpermute_b32 v20, v47, v19
	ds_bpermute_b32 v34, v47, v34
	s_waitcnt lgkmcnt(2)
	v_max_f32_e32 v19, v36, v36
	v_max_f32_e32 v19, v35, v19
	ds_bpermute_b32 v19, v47, v19
	s_and_saveexec_b64 s[4:5], s[28:29]
	s_cbranch_execz .LBB2_147
; %bb.143:                              ;   in Loop: Header=BB2_79 Depth=1
	ds_read_b32 v35, v80
	v_max_f32_e32 v21, v21, v21
	s_waitcnt lgkmcnt(0)
	ds_write_b32 v65, v35
	v_max_f32_e32 v35, v35, v35
	v_max_f32_e32 v21, v35, v21
	ds_write_b32 v80, v21
	s_and_saveexec_b64 s[6:7], s[24:25]
	s_cbranch_execz .LBB2_168
; %bb.144:                              ;   in Loop: Header=BB2_79 Depth=1
	ds_read_b32 v21, v67 offset:4
	v_max_f32_e32 v34, v34, v34
	s_waitcnt lgkmcnt(0)
	ds_write_b32 v66, v21 offset:4
	v_max_f32_e32 v21, v21, v21
	v_max_f32_e32 v21, v21, v34
	ds_write_b32 v67, v21 offset:4
	s_or_b64 exec, exec, s[6:7]
	s_and_saveexec_b64 s[6:7], s[24:25]
	s_cbranch_execnz .LBB2_169
.LBB2_145:                              ;   in Loop: Header=BB2_79 Depth=1
	s_or_b64 exec, exec, s[6:7]
	s_and_b64 exec, exec, s[24:25]
	s_cbranch_execz .LBB2_147
.LBB2_146:                              ;   in Loop: Header=BB2_79 Depth=1
	ds_read_b32 v20, v67 offset:12
	v_max_f32_e32 v19, v19, v19
	s_waitcnt lgkmcnt(0)
	ds_write_b32 v66, v20 offset:12
	v_max_f32_e32 v20, v20, v20
	v_max_f32_e32 v19, v20, v19
	ds_write_b32 v67, v19 offset:12
.LBB2_147:                              ;   in Loop: Header=BB2_79 Depth=1
	s_or_b64 exec, exec, s[4:5]
	s_waitcnt lgkmcnt(2)
	v_mov_b32_e32 v20, 0
	v_mov_b32_e32 v21, 0
	s_waitcnt lgkmcnt(0)
	s_barrier
	s_and_saveexec_b64 s[4:5], s[26:27]
	s_cbranch_execz .LBB2_149
; %bb.148:                              ;   in Loop: Header=BB2_79 Depth=1
	ds_read_b32 v19, v80
	s_waitcnt lgkmcnt(0)
	v_sub_f32_e32 v21, v32, v19
	v_mul_f32_e32 v21, 0x3fb8aa3b, v21
	v_exp_f32_e32 v21, v21
	v_cmp_lg_f32_e32 vcc, s75, v19
	s_and_b64 vcc, s[30:31], vcc
	v_cndmask_b32_e32 v21, 0, v21, vcc
.LBB2_149:                              ;   in Loop: Header=BB2_79 Depth=1
	s_or_b64 exec, exec, s[4:5]
	ds_bpermute_b32 v19, v61, v21
	s_waitcnt lgkmcnt(0)
	v_add_f32_e32 v19, v21, v19
	ds_bpermute_b32 v32, v62, v19
	s_waitcnt lgkmcnt(0)
	v_add_f32_e32 v19, v19, v32
	;; [unrolled: 3-line block ×4, first 2 shown]
	ds_bpermute_b32 v35, v47, v19
	s_and_saveexec_b64 s[4:5], s[26:27]
	s_cbranch_execz .LBB2_151
; %bb.150:                              ;   in Loop: Header=BB2_79 Depth=1
	ds_read_b32 v19, v80 offset:4
	s_waitcnt lgkmcnt(0)
	v_sub_f32_e32 v18, v18, v19
	v_mul_f32_e32 v18, 0x3fb8aa3b, v18
	v_exp_f32_e32 v18, v18
	v_cmp_lg_f32_e32 vcc, s75, v19
	s_and_b64 vcc, s[12:13], vcc
	v_cndmask_b32_e32 v20, 0, v18, vcc
.LBB2_151:                              ;   in Loop: Header=BB2_79 Depth=1
	s_or_b64 exec, exec, s[4:5]
	ds_bpermute_b32 v18, v61, v20
	s_waitcnt lgkmcnt(0)
	v_add_f32_e32 v18, v20, v18
	ds_bpermute_b32 v19, v62, v18
	s_waitcnt lgkmcnt(0)
	v_add_f32_e32 v18, v18, v19
	;; [unrolled: 3-line block ×4, first 2 shown]
	ds_bpermute_b32 v34, v47, v18
	v_mov_b32_e32 v19, 0
	s_and_saveexec_b64 s[4:5], s[26:27]
	s_cbranch_execz .LBB2_153
; %bb.152:                              ;   in Loop: Header=BB2_79 Depth=1
	ds_read_b32 v18, v80 offset:8
	s_waitcnt lgkmcnt(0)
	v_sub_f32_e32 v19, v33, v18
	v_mul_f32_e32 v19, 0x3fb8aa3b, v19
	v_exp_f32_e32 v19, v19
	v_cmp_lg_f32_e32 vcc, s75, v18
	s_and_b64 vcc, s[16:17], vcc
	v_cndmask_b32_e32 v19, 0, v19, vcc
.LBB2_153:                              ;   in Loop: Header=BB2_79 Depth=1
	s_or_b64 exec, exec, s[4:5]
	ds_bpermute_b32 v18, v61, v19
	v_mov_b32_e32 v33, 0xff800000
	s_waitcnt lgkmcnt(0)
	v_add_f32_e32 v18, v19, v18
	ds_bpermute_b32 v32, v62, v18
	s_waitcnt lgkmcnt(0)
	v_add_f32_e32 v18, v18, v32
	ds_bpermute_b32 v32, v63, v18
	;; [unrolled: 3-line block ×4, first 2 shown]
	s_and_saveexec_b64 s[4:5], s[24:25]
	s_cbranch_execz .LBB2_155
; %bb.154:                              ;   in Loop: Header=BB2_79 Depth=1
	ds_read_b32 v33, v68
.LBB2_155:                              ;   in Loop: Header=BB2_79 Depth=1
	s_or_b64 exec, exec, s[4:5]
	v_mov_b32_e32 v18, 0
	s_and_saveexec_b64 s[4:5], s[26:27]
	s_cbranch_execz .LBB2_157
; %bb.156:                              ;   in Loop: Header=BB2_79 Depth=1
	s_waitcnt lgkmcnt(0)
	v_sub_f32_e32 v18, v30, v33
	v_mul_f32_e32 v18, 0x3fb8aa3b, v18
	v_exp_f32_e32 v18, v18
	v_cmp_lg_f32_e32 vcc, s75, v33
	s_and_b64 vcc, s[20:21], vcc
	v_cndmask_b32_e32 v18, 0, v18, vcc
.LBB2_157:                              ;   in Loop: Header=BB2_79 Depth=1
	s_or_b64 exec, exec, s[4:5]
	ds_bpermute_b32 v30, v61, v18
	s_waitcnt lgkmcnt(0)
	v_add_f32_e32 v30, v18, v30
	ds_bpermute_b32 v33, v62, v30
	s_waitcnt lgkmcnt(0)
	v_add_f32_e32 v30, v30, v33
	;; [unrolled: 3-line block ×4, first 2 shown]
	ds_bpermute_b32 v30, v47, v30
	s_and_saveexec_b64 s[6:7], s[28:29]
	s_cbranch_execz .LBB2_186
; %bb.158:                              ;   in Loop: Header=BB2_79 Depth=1
	s_and_saveexec_b64 s[4:5], s[10:11]
	s_xor_b64 s[4:5], exec, s[4:5]
	s_cbranch_execz .LBB2_170
; %bb.159:                              ;   in Loop: Header=BB2_79 Depth=1
	ds_write_b32 v82, v31
	ds_write_b32 v81, v31
                                        ; implicit-def: $vgpr35
	s_andn2_saveexec_b64 s[26:27], s[4:5]
	s_cbranch_execnz .LBB2_171
.LBB2_160:                              ;   in Loop: Header=BB2_79 Depth=1
	s_or_b64 exec, exec, s[26:27]
	s_and_saveexec_b64 s[4:5], s[14:15]
	s_xor_b64 s[4:5], exec, s[4:5]
	s_cbranch_execz .LBB2_174
.LBB2_161:                              ;   in Loop: Header=BB2_79 Depth=1
	ds_write_b32 v82, v31 offset:4
	ds_write_b32 v81, v31 offset:4
                                        ; implicit-def: $vgpr34
	s_andn2_saveexec_b64 s[26:27], s[4:5]
	s_cbranch_execnz .LBB2_175
.LBB2_162:                              ;   in Loop: Header=BB2_79 Depth=1
	s_or_b64 exec, exec, s[26:27]
	s_and_saveexec_b64 s[4:5], s[18:19]
	s_xor_b64 s[4:5], exec, s[4:5]
	s_cbranch_execz .LBB2_178
.LBB2_163:                              ;   in Loop: Header=BB2_79 Depth=1
	ds_write_b32 v82, v31 offset:8
	ds_write_b32 v81, v31 offset:8
                                        ; implicit-def: $vgpr32
	s_andn2_saveexec_b64 s[26:27], s[4:5]
	s_cbranch_execnz .LBB2_179
.LBB2_164:                              ;   in Loop: Header=BB2_79 Depth=1
	s_or_b64 exec, exec, s[26:27]
	s_and_saveexec_b64 s[4:5], s[22:23]
	s_xor_b64 s[4:5], exec, s[4:5]
	s_cbranch_execz .LBB2_182
.LBB2_165:                              ;   in Loop: Header=BB2_79 Depth=1
	s_and_saveexec_b64 s[26:27], s[24:25]
	s_cbranch_execz .LBB2_167
; %bb.166:                              ;   in Loop: Header=BB2_79 Depth=1
	ds_write_b32 v70, v31
	ds_write_b32 v69, v31
.LBB2_167:                              ;   in Loop: Header=BB2_79 Depth=1
	s_or_b64 exec, exec, s[26:27]
                                        ; implicit-def: $vgpr30
	s_andn2_saveexec_b64 s[4:5], s[4:5]
	s_cbranch_execz .LBB2_186
	s_branch .LBB2_183
.LBB2_168:                              ;   in Loop: Header=BB2_79 Depth=1
	s_or_b64 exec, exec, s[6:7]
	s_and_saveexec_b64 s[6:7], s[24:25]
	s_cbranch_execz .LBB2_145
.LBB2_169:                              ;   in Loop: Header=BB2_79 Depth=1
	ds_read_b32 v21, v67 offset:8
	v_max_f32_e32 v20, v20, v20
	s_waitcnt lgkmcnt(0)
	ds_write_b32 v66, v21 offset:8
	v_max_f32_e32 v21, v21, v21
	v_max_f32_e32 v20, v21, v20
	ds_write_b32 v67, v20 offset:8
	s_or_b64 exec, exec, s[6:7]
	s_and_b64 exec, exec, s[24:25]
	s_cbranch_execnz .LBB2_146
	s_branch .LBB2_147
.LBB2_170:                              ;   in Loop: Header=BB2_79 Depth=1
	s_andn2_saveexec_b64 s[26:27], s[4:5]
	s_cbranch_execz .LBB2_160
.LBB2_171:                              ;   in Loop: Header=BB2_79 Depth=1
	ds_read_b32 v37, v65
	ds_read_b32 v33, v83
	v_mov_b32_e32 v36, 0
	s_waitcnt lgkmcnt(1)
	v_cmp_neq_f32_e32 vcc, s75, v37
	s_and_saveexec_b64 s[4:5], vcc
	s_cbranch_execz .LBB2_173
; %bb.172:                              ;   in Loop: Header=BB2_79 Depth=1
	ds_read_b32 v36, v80
	s_waitcnt lgkmcnt(0)
	v_sub_f32_e32 v36, v37, v36
	v_mul_f32_e32 v36, 0x3fb8aa3b, v36
	v_exp_f32_e32 v36, v36
.LBB2_173:                              ;   in Loop: Header=BB2_79 Depth=1
	s_or_b64 exec, exec, s[4:5]
	s_waitcnt lgkmcnt(0)
	v_mul_f32_e32 v37, v33, v36
	v_fmac_f32_e32 v35, v33, v36
	v_div_scale_f32 v33, s[4:5], v35, v35, v37
	v_rcp_f32_e32 v36, v33
	v_fma_f32 v85, -v33, v36, 1.0
	v_fmac_f32_e32 v36, v85, v36
	v_div_scale_f32 v85, vcc, v37, v35, v37
	v_mul_f32_e32 v86, v85, v36
	v_fma_f32 v87, -v33, v86, v85
	v_fmac_f32_e32 v86, v87, v36
	v_fma_f32 v33, -v33, v86, v85
	v_div_fmas_f32 v33, v33, v36, v86
	v_div_scale_f32 v36, s[4:5], v35, v35, 1.0
	v_rcp_f32_e32 v85, v36
	v_div_fixup_f32 v33, v33, v35, v37
	v_cmp_lt_f32_e64 s[4:5], 0, v35
	v_cndmask_b32_e64 v33, 0, v33, s[4:5]
	v_fma_f32 v37, -v36, v85, 1.0
	v_fmac_f32_e32 v85, v37, v85
	v_div_scale_f32 v37, vcc, 1.0, v35, 1.0
	v_mul_f32_e32 v86, v37, v85
	v_fma_f32 v87, -v36, v86, v37
	v_fmac_f32_e32 v86, v87, v85
	v_fma_f32 v36, -v36, v86, v37
	v_div_fmas_f32 v36, v36, v85, v86
	v_div_fixup_f32 v36, v36, v35, 1.0
	v_cndmask_b32_e64 v36, 0, v36, s[4:5]
	ds_write_b32 v82, v33
	ds_write_b32 v81, v36
	;; [unrolled: 1-line block ×3, first 2 shown]
	s_or_b64 exec, exec, s[26:27]
	s_and_saveexec_b64 s[4:5], s[14:15]
	s_xor_b64 s[4:5], exec, s[4:5]
	s_cbranch_execnz .LBB2_161
.LBB2_174:                              ;   in Loop: Header=BB2_79 Depth=1
	s_andn2_saveexec_b64 s[26:27], s[4:5]
	s_cbranch_execz .LBB2_162
.LBB2_175:                              ;   in Loop: Header=BB2_79 Depth=1
	ds_read_b32 v36, v65 offset:4
	ds_read_b32 v33, v83 offset:4
	v_mov_b32_e32 v35, 0
	s_waitcnt lgkmcnt(1)
	v_cmp_neq_f32_e32 vcc, s75, v36
	s_and_saveexec_b64 s[4:5], vcc
	s_cbranch_execz .LBB2_177
; %bb.176:                              ;   in Loop: Header=BB2_79 Depth=1
	ds_read_b32 v35, v80 offset:4
	s_waitcnt lgkmcnt(0)
	v_sub_f32_e32 v35, v36, v35
	v_mul_f32_e32 v35, 0x3fb8aa3b, v35
	v_exp_f32_e32 v35, v35
.LBB2_177:                              ;   in Loop: Header=BB2_79 Depth=1
	s_or_b64 exec, exec, s[4:5]
	s_waitcnt lgkmcnt(0)
	v_mul_f32_e32 v36, v33, v35
	v_fmac_f32_e32 v34, v33, v35
	v_div_scale_f32 v33, s[4:5], v34, v34, v36
	v_rcp_f32_e32 v35, v33
	v_fma_f32 v37, -v33, v35, 1.0
	v_fmac_f32_e32 v35, v37, v35
	v_div_scale_f32 v37, vcc, v36, v34, v36
	v_mul_f32_e32 v85, v37, v35
	v_fma_f32 v86, -v33, v85, v37
	v_fmac_f32_e32 v85, v86, v35
	v_fma_f32 v33, -v33, v85, v37
	v_div_fmas_f32 v33, v33, v35, v85
	v_div_scale_f32 v35, s[4:5], v34, v34, 1.0
	v_rcp_f32_e32 v37, v35
	v_div_fixup_f32 v33, v33, v34, v36
	v_cmp_lt_f32_e64 s[4:5], 0, v34
	v_cndmask_b32_e64 v33, 0, v33, s[4:5]
	v_fma_f32 v36, -v35, v37, 1.0
	v_fmac_f32_e32 v37, v36, v37
	v_div_scale_f32 v36, vcc, 1.0, v34, 1.0
	v_mul_f32_e32 v85, v36, v37
	v_fma_f32 v86, -v35, v85, v36
	v_fmac_f32_e32 v85, v86, v37
	v_fma_f32 v35, -v35, v85, v36
	v_div_fmas_f32 v35, v35, v37, v85
	v_div_fixup_f32 v35, v35, v34, 1.0
	v_cndmask_b32_e64 v35, 0, v35, s[4:5]
	ds_write_b32 v82, v33 offset:4
	ds_write_b32 v81, v35 offset:4
	;; [unrolled: 1-line block ×3, first 2 shown]
	s_or_b64 exec, exec, s[26:27]
	s_and_saveexec_b64 s[4:5], s[18:19]
	s_xor_b64 s[4:5], exec, s[4:5]
	s_cbranch_execnz .LBB2_163
.LBB2_178:                              ;   in Loop: Header=BB2_79 Depth=1
	s_andn2_saveexec_b64 s[26:27], s[4:5]
	s_cbranch_execz .LBB2_164
.LBB2_179:                              ;   in Loop: Header=BB2_79 Depth=1
	ds_read_b32 v35, v65 offset:8
	ds_read_b32 v33, v83 offset:8
	v_mov_b32_e32 v34, 0
	s_waitcnt lgkmcnt(1)
	v_cmp_neq_f32_e32 vcc, s75, v35
	s_and_saveexec_b64 s[4:5], vcc
	s_cbranch_execz .LBB2_181
; %bb.180:                              ;   in Loop: Header=BB2_79 Depth=1
	ds_read_b32 v34, v80 offset:8
	s_waitcnt lgkmcnt(0)
	v_sub_f32_e32 v34, v35, v34
	v_mul_f32_e32 v34, 0x3fb8aa3b, v34
	v_exp_f32_e32 v34, v34
.LBB2_181:                              ;   in Loop: Header=BB2_79 Depth=1
	s_or_b64 exec, exec, s[4:5]
	s_waitcnt lgkmcnt(0)
	v_mul_f32_e32 v35, v33, v34
	v_fmac_f32_e32 v32, v33, v34
	v_div_scale_f32 v33, s[4:5], v32, v32, v35
	v_rcp_f32_e32 v34, v33
	v_fma_f32 v36, -v33, v34, 1.0
	v_fmac_f32_e32 v34, v36, v34
	v_div_scale_f32 v36, vcc, v35, v32, v35
	v_mul_f32_e32 v37, v36, v34
	v_fma_f32 v85, -v33, v37, v36
	v_fmac_f32_e32 v37, v85, v34
	v_fma_f32 v33, -v33, v37, v36
	v_div_fmas_f32 v33, v33, v34, v37
	v_div_scale_f32 v34, s[4:5], v32, v32, 1.0
	v_rcp_f32_e32 v36, v34
	v_div_fixup_f32 v33, v33, v32, v35
	v_cmp_lt_f32_e64 s[4:5], 0, v32
	v_cndmask_b32_e64 v33, 0, v33, s[4:5]
	v_fma_f32 v35, -v34, v36, 1.0
	v_fmac_f32_e32 v36, v35, v36
	v_div_scale_f32 v35, vcc, 1.0, v32, 1.0
	v_mul_f32_e32 v37, v35, v36
	v_fma_f32 v85, -v34, v37, v35
	v_fmac_f32_e32 v37, v85, v36
	v_fma_f32 v34, -v34, v37, v35
	v_div_fmas_f32 v34, v34, v36, v37
	v_div_fixup_f32 v34, v34, v32, 1.0
	v_cndmask_b32_e64 v34, 0, v34, s[4:5]
	ds_write_b32 v82, v33 offset:8
	ds_write_b32 v81, v34 offset:8
	;; [unrolled: 1-line block ×3, first 2 shown]
	s_or_b64 exec, exec, s[26:27]
	s_and_saveexec_b64 s[4:5], s[22:23]
	s_xor_b64 s[4:5], exec, s[4:5]
	s_cbranch_execnz .LBB2_165
.LBB2_182:                              ;   in Loop: Header=BB2_79 Depth=1
	s_andn2_saveexec_b64 s[4:5], s[4:5]
	s_cbranch_execz .LBB2_186
.LBB2_183:                              ;   in Loop: Header=BB2_79 Depth=1
	ds_read_b32 v34, v71
	ds_read_b32 v32, v72
	v_mov_b32_e32 v33, 0
	s_waitcnt lgkmcnt(1)
	v_cmp_neq_f32_e32 vcc, s75, v34
	s_and_saveexec_b64 s[4:5], vcc
	s_cbranch_execz .LBB2_185
; %bb.184:                              ;   in Loop: Header=BB2_79 Depth=1
	ds_read_b32 v33, v68
	s_waitcnt lgkmcnt(0)
	v_sub_f32_e32 v33, v34, v33
	v_mul_f32_e32 v33, 0x3fb8aa3b, v33
	v_exp_f32_e32 v33, v33
.LBB2_185:                              ;   in Loop: Header=BB2_79 Depth=1
	s_or_b64 exec, exec, s[4:5]
	s_waitcnt lgkmcnt(0)
	v_mul_f32_e32 v34, v32, v33
	v_fmac_f32_e32 v30, v32, v33
	v_div_scale_f32 v32, s[4:5], v30, v30, v34
	v_rcp_f32_e32 v33, v32
	v_fma_f32 v35, -v32, v33, 1.0
	v_fmac_f32_e32 v33, v35, v33
	v_div_scale_f32 v35, vcc, v34, v30, v34
	v_mul_f32_e32 v36, v35, v33
	v_fma_f32 v37, -v32, v36, v35
	v_fmac_f32_e32 v36, v37, v33
	v_fma_f32 v32, -v32, v36, v35
	v_div_fmas_f32 v32, v32, v33, v36
	v_div_scale_f32 v33, s[4:5], v30, v30, 1.0
	v_rcp_f32_e32 v35, v33
	v_div_fixup_f32 v32, v32, v30, v34
	v_cmp_lt_f32_e64 s[4:5], 0, v30
	v_cndmask_b32_e64 v32, 0, v32, s[4:5]
	v_fma_f32 v34, -v33, v35, 1.0
	v_fmac_f32_e32 v35, v34, v35
	v_div_scale_f32 v34, vcc, 1.0, v30, 1.0
	v_mul_f32_e32 v36, v34, v35
	v_fma_f32 v37, -v33, v36, v34
	v_fmac_f32_e32 v36, v37, v35
	v_fma_f32 v33, -v33, v36, v34
	v_div_fmas_f32 v33, v33, v35, v36
	v_div_fixup_f32 v33, v33, v30, 1.0
	v_cndmask_b32_e64 v33, 0, v33, s[4:5]
	ds_write_b32 v70, v32
	ds_write_b32 v69, v33
	;; [unrolled: 1-line block ×3, first 2 shown]
.LBB2_186:                              ;   in Loop: Header=BB2_79 Depth=1
	s_or_b64 exec, exec, s[6:7]
	s_waitcnt lgkmcnt(0)
	v_mov_b32_e32 v30, 0
	v_mov_b32_e32 v85, 0
	s_barrier
	s_and_saveexec_b64 s[4:5], s[30:31]
	s_cbranch_execz .LBB2_188
; %bb.187:                              ;   in Loop: Header=BB2_79 Depth=1
	ds_read_b32 v85, v82
.LBB2_188:                              ;   in Loop: Header=BB2_79 Depth=1
	s_or_b64 exec, exec, s[4:5]
	s_or_b64 s[4:5], s[40:41], s[10:11]
	s_xor_b64 s[6:7], s[4:5], -1
	s_and_saveexec_b64 s[4:5], s[6:7]
	s_cbranch_execz .LBB2_190
; %bb.189:                              ;   in Loop: Header=BB2_79 Depth=1
	ds_read_b32 v30, v81
	s_waitcnt lgkmcnt(0)
	v_mul_f32_e32 v30, v21, v30
.LBB2_190:                              ;   in Loop: Header=BB2_79 Depth=1
	s_or_b64 exec, exec, s[4:5]
	v_and_b32_e32 v21, 0x7f800000, v30
	v_cmp_ne_u32_e32 vcc, s70, v21
                                        ; implicit-def: $vgpr21
	s_and_saveexec_b64 s[4:5], vcc
	s_xor_b64 s[4:5], exec, s[4:5]
; %bb.191:                              ;   in Loop: Header=BB2_79 Depth=1
	v_bfe_u32 v21, v30, 16, 1
	v_add3_u32 v21, v30, v21, s71
                                        ; implicit-def: $vgpr30
; %bb.192:                              ;   in Loop: Header=BB2_79 Depth=1
	s_andn2_saveexec_b64 s[4:5], s[4:5]
; %bb.193:                              ;   in Loop: Header=BB2_79 Depth=1
	v_or_b32_e32 v21, 0x10000, v30
	v_cmp_eq_u32_sdwa vcc, v30, v79 src0_sel:WORD_0 src1_sel:DWORD
	v_cndmask_b32_e32 v21, v21, v30, vcc
; %bb.194:                              ;   in Loop: Header=BB2_79 Depth=1
	s_or_b64 exec, exec, s[4:5]
	ds_write_b16_d16_hi v73, v21
	v_mov_b32_e32 v21, 0
	v_mov_b32_e32 v86, 0
	s_and_saveexec_b64 s[4:5], s[12:13]
	s_cbranch_execz .LBB2_196
; %bb.195:                              ;   in Loop: Header=BB2_79 Depth=1
	ds_read_b32 v86, v82 offset:4
.LBB2_196:                              ;   in Loop: Header=BB2_79 Depth=1
	s_or_b64 exec, exec, s[4:5]
	s_or_b64 s[4:5], s[40:41], s[14:15]
	s_xor_b64 s[6:7], s[4:5], -1
	s_and_saveexec_b64 s[4:5], s[6:7]
	s_cbranch_execz .LBB2_198
; %bb.197:                              ;   in Loop: Header=BB2_79 Depth=1
	ds_read_b32 v21, v81 offset:4
	s_waitcnt lgkmcnt(0)
	v_mul_f32_e32 v21, v20, v21
.LBB2_198:                              ;   in Loop: Header=BB2_79 Depth=1
	s_or_b64 exec, exec, s[4:5]
	v_and_b32_e32 v20, 0x7f800000, v21
	v_cmp_ne_u32_e32 vcc, s70, v20
                                        ; implicit-def: $vgpr20
	s_and_saveexec_b64 s[4:5], vcc
	s_xor_b64 s[4:5], exec, s[4:5]
; %bb.199:                              ;   in Loop: Header=BB2_79 Depth=1
	v_bfe_u32 v20, v21, 16, 1
	v_add3_u32 v20, v21, v20, s71
                                        ; implicit-def: $vgpr21
; %bb.200:                              ;   in Loop: Header=BB2_79 Depth=1
	s_andn2_saveexec_b64 s[4:5], s[4:5]
; %bb.201:                              ;   in Loop: Header=BB2_79 Depth=1
	v_or_b32_e32 v20, 0x10000, v21
	v_cmp_eq_u32_sdwa vcc, v21, v79 src0_sel:WORD_0 src1_sel:DWORD
	v_cndmask_b32_e32 v20, v20, v21, vcc
; %bb.202:                              ;   in Loop: Header=BB2_79 Depth=1
	s_or_b64 exec, exec, s[4:5]
	ds_write_b16_d16_hi v73, v20 offset:32
	v_mov_b32_e32 v20, 0
	v_mov_b32_e32 v87, 0
	s_and_saveexec_b64 s[4:5], s[16:17]
	s_cbranch_execz .LBB2_204
; %bb.203:                              ;   in Loop: Header=BB2_79 Depth=1
	ds_read_b32 v87, v82 offset:8
.LBB2_204:                              ;   in Loop: Header=BB2_79 Depth=1
	s_or_b64 exec, exec, s[4:5]
	s_or_b64 s[4:5], s[40:41], s[18:19]
	s_xor_b64 s[6:7], s[4:5], -1
	s_and_saveexec_b64 s[4:5], s[6:7]
	s_cbranch_execz .LBB2_206
; %bb.205:                              ;   in Loop: Header=BB2_79 Depth=1
	ds_read_b32 v20, v81 offset:8
	s_waitcnt lgkmcnt(0)
	v_mul_f32_e32 v20, v19, v20
.LBB2_206:                              ;   in Loop: Header=BB2_79 Depth=1
	s_or_b64 exec, exec, s[4:5]
	v_and_b32_e32 v19, 0x7f800000, v20
	v_cmp_ne_u32_e32 vcc, s70, v19
                                        ; implicit-def: $vgpr19
	s_and_saveexec_b64 s[4:5], vcc
	s_xor_b64 s[4:5], exec, s[4:5]
; %bb.207:                              ;   in Loop: Header=BB2_79 Depth=1
	v_bfe_u32 v19, v20, 16, 1
	v_add3_u32 v19, v20, v19, s71
                                        ; implicit-def: $vgpr20
; %bb.208:                              ;   in Loop: Header=BB2_79 Depth=1
	s_andn2_saveexec_b64 s[4:5], s[4:5]
; %bb.209:                              ;   in Loop: Header=BB2_79 Depth=1
	v_or_b32_e32 v19, 0x10000, v20
	v_cmp_eq_u32_sdwa vcc, v20, v79 src0_sel:WORD_0 src1_sel:DWORD
	v_cndmask_b32_e32 v19, v19, v20, vcc
; %bb.210:                              ;   in Loop: Header=BB2_79 Depth=1
	s_or_b64 exec, exec, s[4:5]
	ds_write_b16_d16_hi v73, v19 offset:64
	v_mov_b32_e32 v19, 0
	v_mov_b32_e32 v88, 0
	s_and_saveexec_b64 s[4:5], s[20:21]
	s_cbranch_execz .LBB2_212
; %bb.211:                              ;   in Loop: Header=BB2_79 Depth=1
	ds_read_b32 v88, v70
.LBB2_212:                              ;   in Loop: Header=BB2_79 Depth=1
	s_or_b64 exec, exec, s[4:5]
	s_or_b64 s[4:5], s[40:41], s[22:23]
	s_xor_b64 s[6:7], s[4:5], -1
	s_and_saveexec_b64 s[4:5], s[6:7]
	s_cbranch_execz .LBB2_214
; %bb.213:                              ;   in Loop: Header=BB2_79 Depth=1
	ds_read_b32 v19, v69
	s_waitcnt lgkmcnt(0)
	v_mul_f32_e32 v19, v18, v19
.LBB2_214:                              ;   in Loop: Header=BB2_79 Depth=1
	s_or_b64 exec, exec, s[4:5]
	s_and_saveexec_b64 s[4:5], s[24:25]
	s_cbranch_execz .LBB2_220
; %bb.215:                              ;   in Loop: Header=BB2_79 Depth=1
	v_and_b32_e32 v18, 0x7f800000, v19
	v_cmp_ne_u32_e32 vcc, s70, v18
                                        ; implicit-def: $vgpr18
	s_and_saveexec_b64 s[6:7], vcc
	s_xor_b64 s[6:7], exec, s[6:7]
; %bb.216:                              ;   in Loop: Header=BB2_79 Depth=1
	v_bfe_u32 v18, v19, 16, 1
	v_add3_u32 v18, v19, v18, s71
                                        ; implicit-def: $vgpr19
; %bb.217:                              ;   in Loop: Header=BB2_79 Depth=1
	s_andn2_saveexec_b64 s[6:7], s[6:7]
; %bb.218:                              ;   in Loop: Header=BB2_79 Depth=1
	v_or_b32_e32 v18, 0x10000, v19
	v_cmp_eq_u32_sdwa vcc, v19, v79 src0_sel:WORD_0 src1_sel:DWORD
	v_cndmask_b32_e32 v18, v18, v19, vcc
; %bb.219:                              ;   in Loop: Header=BB2_79 Depth=1
	s_or_b64 exec, exec, s[6:7]
	ds_write_b16_d16_hi v74, v18
.LBB2_220:                              ;   in Loop: Header=BB2_79 Depth=1
	s_or_b64 exec, exec, s[4:5]
	s_mov_b32 s45, s44
	v_pk_mov_b32 v[18:19], s[44:45], s[44:45] op_sel:[0,1]
	s_waitcnt lgkmcnt(0)
	s_barrier
	s_and_saveexec_b64 s[4:5], s[2:3]
	s_cbranch_execz .LBB2_230
; %bb.221:                              ;   in Loop: Header=BB2_79 Depth=1
	v_cmp_gt_i32_e32 vcc, s79, v39
	v_pk_mov_b32 v[18:19], s[44:45], s[44:45] op_sel:[0,1]
	s_and_saveexec_b64 s[6:7], vcc
	s_cbranch_execz .LBB2_225
; %bb.222:                              ;   in Loop: Header=BB2_79 Depth=1
	ds_read_u16 v18, v75
	s_waitcnt lgkmcnt(0)
	v_and_b32_e32 v30, 0xffff, v18
	v_pk_mov_b32 v[18:19], v[30:31], v[30:31] op_sel:[0,1]
	s_or_b64 exec, exec, s[6:7]
	v_cmp_gt_i32_e32 vcc, s80, v44
	s_and_saveexec_b64 s[6:7], vcc
	s_cbranch_execnz .LBB2_226
.LBB2_223:                              ;   in Loop: Header=BB2_79 Depth=1
	s_or_b64 exec, exec, s[6:7]
	v_cmp_gt_i32_e32 vcc, s80, v43
	s_and_saveexec_b64 s[6:7], vcc
	s_cbranch_execz .LBB2_227
.LBB2_224:                              ;   in Loop: Header=BB2_79 Depth=1
	ds_read_u16 v20, v75 offset:4
	s_waitcnt lgkmcnt(0)
	v_bfi_b32 v19, s72, v20, v19
	s_or_b64 exec, exec, s[6:7]
	v_cmp_gt_i32_e32 vcc, s80, v42
	s_and_saveexec_b64 s[6:7], vcc
	s_cbranch_execnz .LBB2_228
	s_branch .LBB2_229
.LBB2_225:                              ;   in Loop: Header=BB2_79 Depth=1
	s_or_b64 exec, exec, s[6:7]
	v_cmp_gt_i32_e32 vcc, s80, v44
	s_and_saveexec_b64 s[6:7], vcc
	s_cbranch_execz .LBB2_223
.LBB2_226:                              ;   in Loop: Header=BB2_79 Depth=1
	ds_read_u16 v20, v75 offset:2
	s_waitcnt lgkmcnt(0)
	v_perm_b32 v18, v20, v18, s74
	s_or_b64 exec, exec, s[6:7]
	v_cmp_gt_i32_e32 vcc, s80, v43
	s_and_saveexec_b64 s[6:7], vcc
	s_cbranch_execnz .LBB2_224
.LBB2_227:                              ;   in Loop: Header=BB2_79 Depth=1
	s_or_b64 exec, exec, s[6:7]
	v_cmp_gt_i32_e32 vcc, s80, v42
	s_and_saveexec_b64 s[6:7], vcc
	s_cbranch_execz .LBB2_229
.LBB2_228:                              ;   in Loop: Header=BB2_79 Depth=1
	ds_read_u16 v20, v76
	s_waitcnt lgkmcnt(0)
	v_perm_b32 v19, v20, v19, s74
.LBB2_229:                              ;   in Loop: Header=BB2_79 Depth=1
	s_or_b64 exec, exec, s[6:7]
.LBB2_230:                              ;   in Loop: Header=BB2_79 Depth=1
	s_or_b64 exec, exec, s[4:5]
	s_mov_b32 s45, s44
	v_cmp_gt_i32_e32 vcc, s79, v39
	v_pk_mov_b32 v[20:21], s[44:45], s[44:45] op_sel:[0,1]
	s_and_saveexec_b64 s[4:5], vcc
	s_cbranch_execz .LBB2_234
; %bb.231:                              ;   in Loop: Header=BB2_79 Depth=1
	ds_read_u16 v20, v48
	s_waitcnt lgkmcnt(0)
	v_and_b32_e32 v30, 0xffff, v20
	v_pk_mov_b32 v[20:21], v[30:31], v[30:31] op_sel:[0,1]
	s_or_b64 exec, exec, s[4:5]
	v_cmp_gt_i32_e64 s[4:5], s80, v44
	s_and_saveexec_b64 s[6:7], s[4:5]
	s_cbranch_execnz .LBB2_235
.LBB2_232:                              ;   in Loop: Header=BB2_79 Depth=1
	s_or_b64 exec, exec, s[6:7]
	v_cmp_gt_i32_e64 s[6:7], s80, v43
	s_and_saveexec_b64 s[26:27], s[6:7]
	s_cbranch_execz .LBB2_236
.LBB2_233:                              ;   in Loop: Header=BB2_79 Depth=1
	ds_read_u16 v30, v48 offset:4
	s_waitcnt lgkmcnt(0)
	v_bfi_b32 v21, s72, v30, v21
	s_or_b64 exec, exec, s[26:27]
	v_cmp_gt_i32_e64 s[26:27], s80, v42
	s_and_saveexec_b64 s[34:35], s[26:27]
	s_cbranch_execnz .LBB2_237
	s_branch .LBB2_238
.LBB2_234:                              ;   in Loop: Header=BB2_79 Depth=1
	s_or_b64 exec, exec, s[4:5]
	v_cmp_gt_i32_e64 s[4:5], s80, v44
	s_and_saveexec_b64 s[6:7], s[4:5]
	s_cbranch_execz .LBB2_232
.LBB2_235:                              ;   in Loop: Header=BB2_79 Depth=1
	ds_read_u16 v30, v48 offset:2
	s_waitcnt lgkmcnt(0)
	v_perm_b32 v20, v30, v20, s74
	s_or_b64 exec, exec, s[6:7]
	v_cmp_gt_i32_e64 s[6:7], s80, v43
	s_and_saveexec_b64 s[26:27], s[6:7]
	s_cbranch_execnz .LBB2_233
.LBB2_236:                              ;   in Loop: Header=BB2_79 Depth=1
	s_or_b64 exec, exec, s[26:27]
	v_cmp_gt_i32_e64 s[26:27], s80, v42
	s_and_saveexec_b64 s[34:35], s[26:27]
	s_cbranch_execz .LBB2_238
.LBB2_237:                              ;   in Loop: Header=BB2_79 Depth=1
	ds_read_u16 v30, v49
	s_waitcnt lgkmcnt(0)
	v_perm_b32 v21, v30, v21, s74
.LBB2_238:                              ;   in Loop: Header=BB2_79 Depth=1
	s_or_b64 exec, exec, s[34:35]
	s_mov_b32 s45, s44
	v_pk_mov_b32 v[32:33], s[44:45], s[44:45] op_sel:[0,1]
	s_and_saveexec_b64 s[34:35], vcc
	s_cbranch_execz .LBB2_242
; %bb.239:                              ;   in Loop: Header=BB2_79 Depth=1
	ds_read_u16 v30, v48 offset:512
	s_waitcnt lgkmcnt(0)
	v_and_b32_e32 v30, 0xffff, v30
	v_pk_mov_b32 v[32:33], v[30:31], v[30:31] op_sel:[0,1]
	s_or_b64 exec, exec, s[34:35]
	s_and_saveexec_b64 s[34:35], s[4:5]
	s_cbranch_execnz .LBB2_243
.LBB2_240:                              ;   in Loop: Header=BB2_79 Depth=1
	s_or_b64 exec, exec, s[34:35]
	s_and_saveexec_b64 s[34:35], s[6:7]
	s_cbranch_execz .LBB2_244
.LBB2_241:                              ;   in Loop: Header=BB2_79 Depth=1
	ds_read_u16 v30, v48 offset:516
	s_waitcnt lgkmcnt(0)
	v_bfi_b32 v33, s72, v30, v33
	s_or_b64 exec, exec, s[34:35]
	s_and_saveexec_b64 s[34:35], s[26:27]
	s_cbranch_execnz .LBB2_245
	s_branch .LBB2_246
.LBB2_242:                              ;   in Loop: Header=BB2_79 Depth=1
	s_or_b64 exec, exec, s[34:35]
	s_and_saveexec_b64 s[34:35], s[4:5]
	s_cbranch_execz .LBB2_240
.LBB2_243:                              ;   in Loop: Header=BB2_79 Depth=1
	ds_read_u16 v30, v48 offset:514
	s_waitcnt lgkmcnt(0)
	v_perm_b32 v32, v30, v32, s74
	s_or_b64 exec, exec, s[34:35]
	s_and_saveexec_b64 s[34:35], s[6:7]
	s_cbranch_execnz .LBB2_241
.LBB2_244:                              ;   in Loop: Header=BB2_79 Depth=1
	s_or_b64 exec, exec, s[34:35]
	s_and_saveexec_b64 s[34:35], s[26:27]
	s_cbranch_execz .LBB2_246
.LBB2_245:                              ;   in Loop: Header=BB2_79 Depth=1
	ds_read_u16 v30, v49 offset:512
	s_waitcnt lgkmcnt(0)
	v_perm_b32 v33, v30, v33, s74
.LBB2_246:                              ;   in Loop: Header=BB2_79 Depth=1
	s_or_b64 exec, exec, s[34:35]
	s_mov_b32 s45, s44
	v_pk_mov_b32 v[34:35], s[44:45], s[44:45] op_sel:[0,1]
	s_and_saveexec_b64 s[34:35], vcc
	s_cbranch_execz .LBB2_250
; %bb.247:                              ;   in Loop: Header=BB2_79 Depth=1
	ds_read_u16 v30, v48 offset:1024
	s_waitcnt lgkmcnt(0)
	v_and_b32_e32 v30, 0xffff, v30
	v_pk_mov_b32 v[34:35], v[30:31], v[30:31] op_sel:[0,1]
	s_or_b64 exec, exec, s[34:35]
	s_and_saveexec_b64 s[34:35], s[4:5]
	s_cbranch_execnz .LBB2_251
.LBB2_248:                              ;   in Loop: Header=BB2_79 Depth=1
	s_or_b64 exec, exec, s[34:35]
	s_and_saveexec_b64 s[34:35], s[6:7]
	s_cbranch_execz .LBB2_252
.LBB2_249:                              ;   in Loop: Header=BB2_79 Depth=1
	ds_read_u16 v30, v48 offset:1028
	s_waitcnt lgkmcnt(0)
	v_bfi_b32 v35, s72, v30, v35
	s_or_b64 exec, exec, s[34:35]
	s_and_saveexec_b64 s[34:35], s[26:27]
	s_cbranch_execnz .LBB2_253
	s_branch .LBB2_254
.LBB2_250:                              ;   in Loop: Header=BB2_79 Depth=1
	s_or_b64 exec, exec, s[34:35]
	s_and_saveexec_b64 s[34:35], s[4:5]
	s_cbranch_execz .LBB2_248
.LBB2_251:                              ;   in Loop: Header=BB2_79 Depth=1
	ds_read_u16 v30, v48 offset:1026
	s_waitcnt lgkmcnt(0)
	v_perm_b32 v34, v30, v34, s74
	s_or_b64 exec, exec, s[34:35]
	s_and_saveexec_b64 s[34:35], s[6:7]
	s_cbranch_execnz .LBB2_249
.LBB2_252:                              ;   in Loop: Header=BB2_79 Depth=1
	s_or_b64 exec, exec, s[34:35]
	s_and_saveexec_b64 s[34:35], s[26:27]
	s_cbranch_execz .LBB2_254
.LBB2_253:                              ;   in Loop: Header=BB2_79 Depth=1
	ds_read_u16 v30, v49 offset:1024
	s_waitcnt lgkmcnt(0)
	v_perm_b32 v35, v30, v35, s74
.LBB2_254:                              ;   in Loop: Header=BB2_79 Depth=1
	s_or_b64 exec, exec, s[34:35]
	s_mov_b32 s45, s44
	v_pk_mov_b32 v[36:37], s[44:45], s[44:45] op_sel:[0,1]
	s_and_saveexec_b64 s[34:35], vcc
	s_cbranch_execz .LBB2_258
; %bb.255:                              ;   in Loop: Header=BB2_79 Depth=1
	ds_read_u16 v30, v50
	s_waitcnt lgkmcnt(0)
	v_and_b32_e32 v30, 0xffff, v30
	v_pk_mov_b32 v[36:37], v[30:31], v[30:31] op_sel:[0,1]
	s_or_b64 exec, exec, s[34:35]
	s_and_saveexec_b64 s[34:35], s[4:5]
	s_cbranch_execnz .LBB2_259
.LBB2_256:                              ;   in Loop: Header=BB2_79 Depth=1
	s_or_b64 exec, exec, s[34:35]
	s_and_saveexec_b64 s[4:5], s[6:7]
	s_cbranch_execz .LBB2_260
.LBB2_257:                              ;   in Loop: Header=BB2_79 Depth=1
	ds_read_u16 v30, v50 offset:4
	s_waitcnt lgkmcnt(0)
	v_bfi_b32 v37, s72, v30, v37
	s_or_b64 exec, exec, s[4:5]
	s_and_saveexec_b64 s[4:5], s[26:27]
	s_cbranch_execz .LBB2_78
	s_branch .LBB2_261
.LBB2_258:                              ;   in Loop: Header=BB2_79 Depth=1
	s_or_b64 exec, exec, s[34:35]
	s_and_saveexec_b64 s[34:35], s[4:5]
	s_cbranch_execz .LBB2_256
.LBB2_259:                              ;   in Loop: Header=BB2_79 Depth=1
	ds_read_u16 v30, v50 offset:2
	s_waitcnt lgkmcnt(0)
	v_perm_b32 v36, v30, v36, s74
	s_or_b64 exec, exec, s[34:35]
	s_and_saveexec_b64 s[4:5], s[6:7]
	s_cbranch_execnz .LBB2_257
.LBB2_260:                              ;   in Loop: Header=BB2_79 Depth=1
	s_or_b64 exec, exec, s[4:5]
	s_and_saveexec_b64 s[4:5], s[26:27]
	s_cbranch_execz .LBB2_78
.LBB2_261:                              ;   in Loop: Header=BB2_79 Depth=1
	ds_read_u16 v30, v51
	s_waitcnt lgkmcnt(0)
	v_perm_b32 v37, v30, v37, s74
	s_branch .LBB2_78
.LBB2_262:
	s_cmp_lg_u64 s[42:43], 0
	s_cbranch_scc0 .LBB2_304
; %bb.263:
	v_cmp_eq_u32_e32 vcc, 0, v38
	s_and_saveexec_b64 s[0:1], vcc
	s_cbranch_execz .LBB2_301
; %bb.264:
	v_cmp_le_u32_e32 vcc, s49, v39
	s_and_saveexec_b64 s[2:3], vcc
	s_xor_b64 s[2:3], exec, s[2:3]
	s_cbranch_execz .LBB2_266
; %bb.265:
	v_mov_b32_e32 v1, 1.0
	ds_write_b32 v41, v1 offset:4928
.LBB2_266:
	s_andn2_saveexec_b64 s[2:3], s[2:3]
	s_cbranch_execz .LBB2_272
; %bb.267:
	v_add_u32_e32 v18, s33, v39
	v_ashrrev_i32_e32 v19, 31, v18
	v_lshlrev_b64 v[18:19], 1, v[18:19]
	v_mov_b32_e32 v1, s43
	v_add_co_u32_e32 v18, vcc, s42, v18
	v_addc_co_u32_e32 v19, vcc, v1, v19, vcc
	global_load_ushort v1, v[18:19], off
	s_movk_i32 s4, 0x1f8
	s_waitcnt vmcnt(0)
	v_lshlrev_b32_e32 v1, 16, v1
	v_cmp_class_f32_e64 s[4:5], v1, s4
	s_and_saveexec_b64 s[6:7], s[4:5]
	s_xor_b64 s[4:5], exec, s[6:7]
	s_cbranch_execz .LBB2_269
; %bb.268:
	v_add_u32_e32 v20, 0x1000, v41
	ds_read2_b32 v[18:19], v20 offset0:144 offset1:160
	v_max_f32_e32 v21, v1, v1
	s_mov_b32 s6, 0xff800000
	s_waitcnt lgkmcnt(0)
	v_max_f32_e32 v22, v19, v19
	v_max_f32_e32 v21, v22, v21
	v_sub_f32_e32 v22, v19, v21
	v_sub_f32_e32 v1, v1, v21
	v_mul_f32_e32 v22, 0x3fb8aa3b, v22
	v_exp_f32_e32 v22, v22
	v_mul_f32_e32 v1, 0x3fb8aa3b, v1
	v_exp_f32_e32 v1, v1
	v_cmp_neq_f32_e32 vcc, s6, v19
	v_cndmask_b32_e32 v19, 0, v22, vcc
	v_mul_f32_e32 v22, v18, v19
	v_fmac_f32_e32 v1, v18, v19
	v_div_scale_f32 v18, s[6:7], v1, v1, v22
	v_rcp_f32_e32 v19, v18
	v_div_scale_f32 v23, vcc, v22, v1, v22
	v_fma_f32 v24, -v18, v19, 1.0
	v_fmac_f32_e32 v19, v24, v19
	v_mul_f32_e32 v24, v23, v19
	v_fma_f32 v25, -v18, v24, v23
	v_fmac_f32_e32 v24, v25, v19
	v_fma_f32 v18, -v18, v24, v23
	v_div_fmas_f32 v18, v18, v19, v24
	v_div_fixup_f32 v18, v18, v1, v22
	v_cmp_lt_f32_e32 vcc, 0, v1
	v_cndmask_b32_e32 v18, 1.0, v18, vcc
	ds_write_b32 v41, v18 offset:4928
	ds_write2_b32 v20, v1, v21 offset0:144 offset1:160
.LBB2_269:
	s_andn2_saveexec_b64 s[4:5], s[4:5]
	s_cbranch_execz .LBB2_271
; %bb.270:
	v_mov_b32_e32 v1, 1.0
	ds_write_b32 v41, v1 offset:4928
.LBB2_271:
	s_or_b64 exec, exec, s[4:5]
.LBB2_272:
	s_or_b64 exec, exec, s[2:3]
	v_or_b32_e32 v1, 1, v40
	v_cmp_le_u32_e32 vcc, s60, v1
	s_and_saveexec_b64 s[2:3], vcc
	s_xor_b64 s[2:3], exec, s[2:3]
	s_cbranch_execz .LBB2_276
; %bb.273:
	v_cmp_gt_u32_e32 vcc, 64, v0
	s_and_saveexec_b64 s[4:5], vcc
	s_cbranch_execz .LBB2_275
; %bb.274:
	v_lshlrev_b32_e32 v1, 2, v40
	v_mov_b32_e32 v18, 1.0
	ds_write_b32 v1, v18 offset:4932
.LBB2_275:
	s_or_b64 exec, exec, s[4:5]
.LBB2_276:
	s_andn2_saveexec_b64 s[2:3], s[2:3]
	s_cbranch_execz .LBB2_282
; %bb.277:
	s_ashr_i32 s4, s33, 31
	v_mov_b32_e32 v1, s4
	v_add_co_u32_e32 v18, vcc, s33, v40
	v_addc_co_u32_e32 v19, vcc, 0, v1, vcc
	v_lshlrev_b64 v[18:19], 1, v[18:19]
	v_mov_b32_e32 v1, s43
	v_add_co_u32_e32 v18, vcc, s42, v18
	v_addc_co_u32_e32 v19, vcc, v1, v19, vcc
	global_load_ushort v1, v[18:19], off offset:2
	s_movk_i32 s4, 0x1f8
	s_waitcnt vmcnt(0)
	v_lshlrev_b32_e32 v1, 16, v1
	v_cmp_class_f32_e64 s[4:5], v1, s4
	s_and_saveexec_b64 s[6:7], s[4:5]
	s_xor_b64 s[4:5], exec, s[6:7]
	s_cbranch_execz .LBB2_279
; %bb.278:
	v_lshlrev_b32_e32 v20, 2, v40
	v_add_u32_e32 v21, 0x1000, v20
	ds_read2_b32 v[18:19], v21 offset0:145 offset1:161
	v_max_f32_e32 v22, v1, v1
	s_mov_b32 s6, 0xff800000
	s_waitcnt lgkmcnt(0)
	v_max_f32_e32 v23, v19, v19
	v_max_f32_e32 v22, v23, v22
	v_sub_f32_e32 v23, v19, v22
	v_sub_f32_e32 v1, v1, v22
	v_mul_f32_e32 v23, 0x3fb8aa3b, v23
	v_exp_f32_e32 v23, v23
	v_mul_f32_e32 v1, 0x3fb8aa3b, v1
	v_exp_f32_e32 v1, v1
	v_cmp_neq_f32_e32 vcc, s6, v19
	v_cndmask_b32_e32 v19, 0, v23, vcc
	v_mul_f32_e32 v23, v18, v19
	v_fmac_f32_e32 v1, v18, v19
	v_div_scale_f32 v18, s[6:7], v1, v1, v23
	v_rcp_f32_e32 v19, v18
	v_div_scale_f32 v24, vcc, v23, v1, v23
	v_fma_f32 v25, -v18, v19, 1.0
	v_fmac_f32_e32 v19, v25, v19
	v_mul_f32_e32 v25, v24, v19
	v_fma_f32 v26, -v18, v25, v24
	v_fmac_f32_e32 v25, v26, v19
	v_fma_f32 v18, -v18, v25, v24
	v_div_fmas_f32 v18, v18, v19, v25
	v_div_fixup_f32 v18, v18, v1, v23
	v_cmp_lt_f32_e32 vcc, 0, v1
	v_cndmask_b32_e32 v18, 1.0, v18, vcc
	ds_write_b32 v20, v18 offset:4932
	ds_write2_b32 v21, v1, v22 offset0:145 offset1:161
.LBB2_279:
	s_andn2_saveexec_b64 s[4:5], s[4:5]
	s_cbranch_execz .LBB2_281
; %bb.280:
	v_lshlrev_b32_e32 v1, 2, v40
	v_mov_b32_e32 v18, 1.0
	ds_write_b32 v1, v18 offset:4932
.LBB2_281:
	s_or_b64 exec, exec, s[4:5]
.LBB2_282:
	s_or_b64 exec, exec, s[2:3]
	v_or_b32_e32 v1, 2, v40
	v_cmp_le_u32_e32 vcc, s60, v1
	s_and_saveexec_b64 s[2:3], vcc
	s_xor_b64 s[2:3], exec, s[2:3]
	s_cbranch_execz .LBB2_286
; %bb.283:
	v_cmp_gt_u32_e32 vcc, 64, v0
	s_and_saveexec_b64 s[4:5], vcc
	s_cbranch_execz .LBB2_285
; %bb.284:
	v_lshlrev_b32_e32 v1, 2, v40
	v_mov_b32_e32 v18, 1.0
	ds_write_b32 v1, v18 offset:4936
.LBB2_285:
	s_or_b64 exec, exec, s[4:5]
.LBB2_286:
	s_andn2_saveexec_b64 s[2:3], s[2:3]
	s_cbranch_execz .LBB2_292
; %bb.287:
	s_ashr_i32 s4, s33, 31
	v_mov_b32_e32 v1, s4
	v_add_co_u32_e32 v18, vcc, s33, v40
	v_addc_co_u32_e32 v19, vcc, 0, v1, vcc
	v_lshlrev_b64 v[18:19], 1, v[18:19]
	v_mov_b32_e32 v1, s43
	v_add_co_u32_e32 v18, vcc, s42, v18
	v_addc_co_u32_e32 v19, vcc, v1, v19, vcc
	global_load_ushort v1, v[18:19], off offset:4
	s_movk_i32 s4, 0x1f8
	s_waitcnt vmcnt(0)
	v_lshlrev_b32_e32 v1, 16, v1
	v_cmp_class_f32_e64 s[4:5], v1, s4
	s_and_saveexec_b64 s[6:7], s[4:5]
	s_xor_b64 s[4:5], exec, s[6:7]
	s_cbranch_execz .LBB2_289
; %bb.288:
	v_lshlrev_b32_e32 v20, 2, v40
	v_add_u32_e32 v21, 0x1000, v20
	ds_read2_b32 v[18:19], v21 offset0:146 offset1:162
	v_max_f32_e32 v22, v1, v1
	s_mov_b32 s6, 0xff800000
	s_waitcnt lgkmcnt(0)
	v_max_f32_e32 v23, v19, v19
	v_max_f32_e32 v22, v23, v22
	v_sub_f32_e32 v23, v19, v22
	v_sub_f32_e32 v1, v1, v22
	v_mul_f32_e32 v23, 0x3fb8aa3b, v23
	v_exp_f32_e32 v23, v23
	v_mul_f32_e32 v1, 0x3fb8aa3b, v1
	v_exp_f32_e32 v1, v1
	v_cmp_neq_f32_e32 vcc, s6, v19
	v_cndmask_b32_e32 v19, 0, v23, vcc
	v_mul_f32_e32 v23, v18, v19
	v_fmac_f32_e32 v1, v18, v19
	v_div_scale_f32 v18, s[6:7], v1, v1, v23
	v_rcp_f32_e32 v19, v18
	v_div_scale_f32 v24, vcc, v23, v1, v23
	v_fma_f32 v25, -v18, v19, 1.0
	v_fmac_f32_e32 v19, v25, v19
	v_mul_f32_e32 v25, v24, v19
	v_fma_f32 v26, -v18, v25, v24
	v_fmac_f32_e32 v25, v26, v19
	v_fma_f32 v18, -v18, v25, v24
	v_div_fmas_f32 v18, v18, v19, v25
	v_div_fixup_f32 v18, v18, v1, v23
	v_cmp_lt_f32_e32 vcc, 0, v1
	v_cndmask_b32_e32 v18, 1.0, v18, vcc
	ds_write_b32 v20, v18 offset:4936
	ds_write2_b32 v21, v1, v22 offset0:146 offset1:162
.LBB2_289:
	s_andn2_saveexec_b64 s[4:5], s[4:5]
	s_cbranch_execz .LBB2_291
; %bb.290:
	v_lshlrev_b32_e32 v1, 2, v40
	v_mov_b32_e32 v18, 1.0
	ds_write_b32 v1, v18 offset:4936
.LBB2_291:
	s_or_b64 exec, exec, s[4:5]
.LBB2_292:
	s_or_b64 exec, exec, s[2:3]
	v_cmp_le_u32_e32 vcc, s60, v42
	s_and_saveexec_b64 s[2:3], vcc
	s_xor_b64 s[2:3], exec, s[2:3]
	s_cbranch_execz .LBB2_296
; %bb.293:
	v_cmp_gt_u32_e32 vcc, 64, v0
	s_and_saveexec_b64 s[4:5], vcc
	s_cbranch_execz .LBB2_295
; %bb.294:
	v_lshlrev_b32_e32 v1, 2, v40
	v_mov_b32_e32 v18, 1.0
	ds_write_b32 v1, v18 offset:4940
.LBB2_295:
	s_or_b64 exec, exec, s[4:5]
.LBB2_296:
	s_andn2_saveexec_b64 s[2:3], s[2:3]
	s_cbranch_execz .LBB2_301
; %bb.297:
	s_ashr_i32 s2, s33, 31
	v_mov_b32_e32 v1, s2
	v_add_co_u32_e32 v18, vcc, s33, v40
	v_addc_co_u32_e32 v19, vcc, 0, v1, vcc
	v_lshlrev_b64 v[18:19], 1, v[18:19]
	v_mov_b32_e32 v1, s43
	v_add_co_u32_e32 v18, vcc, s42, v18
	v_addc_co_u32_e32 v19, vcc, v1, v19, vcc
	global_load_ushort v1, v[18:19], off offset:6
	s_movk_i32 s2, 0x1f8
	s_waitcnt vmcnt(0)
	v_lshlrev_b32_e32 v18, 16, v1
	v_cmp_class_f32_e64 s[2:3], v18, s2
	v_lshlrev_b32_e32 v1, 2, v40
	s_and_saveexec_b64 s[4:5], s[2:3]
	s_xor_b64 s[2:3], exec, s[4:5]
	s_cbranch_execz .LBB2_299
; %bb.298:
	v_add_u32_e32 v19, 0x1000, v1
	ds_read2_b32 v[20:21], v19 offset0:147 offset1:163
	v_max_f32_e32 v22, v18, v18
	s_mov_b32 s4, 0xff800000
	s_waitcnt lgkmcnt(0)
	v_max_f32_e32 v23, v21, v21
	v_max_f32_e32 v22, v23, v22
	v_sub_f32_e32 v23, v21, v22
	v_sub_f32_e32 v18, v18, v22
	v_mul_f32_e32 v23, 0x3fb8aa3b, v23
	v_exp_f32_e32 v23, v23
	v_mul_f32_e32 v18, 0x3fb8aa3b, v18
	v_exp_f32_e32 v18, v18
	v_cmp_neq_f32_e32 vcc, s4, v21
	v_cndmask_b32_e32 v21, 0, v23, vcc
	v_mul_f32_e32 v23, v20, v21
	v_fmac_f32_e32 v18, v20, v21
	v_div_scale_f32 v20, s[4:5], v18, v18, v23
	v_rcp_f32_e32 v21, v20
	v_div_scale_f32 v24, vcc, v23, v18, v23
	v_fma_f32 v25, -v20, v21, 1.0
	v_fmac_f32_e32 v21, v25, v21
	v_mul_f32_e32 v25, v24, v21
	v_fma_f32 v26, -v20, v25, v24
	v_fmac_f32_e32 v25, v26, v21
	v_fma_f32 v20, -v20, v25, v24
	v_div_fmas_f32 v20, v20, v21, v25
	v_div_fixup_f32 v20, v20, v18, v23
	v_cmp_lt_f32_e32 vcc, 0, v18
	v_cndmask_b32_e32 v20, 1.0, v20, vcc
	ds_write_b32 v1, v20 offset:4940
	ds_write2_b32 v19, v18, v22 offset0:147 offset1:163
                                        ; implicit-def: $vgpr1
.LBB2_299:
	s_andn2_saveexec_b64 s[2:3], s[2:3]
	s_cbranch_execz .LBB2_301
; %bb.300:
	v_mov_b32_e32 v18, 1.0
	ds_write_b32 v1, v18 offset:4940
.LBB2_301:
	s_or_b64 exec, exec, s[0:1]
	s_waitcnt lgkmcnt(0)
	s_barrier
	ds_read_b96 v[18:20], v41 offset:4928
	v_cmp_gt_u32_e32 vcc, 64, v0
	v_mov_b32_e32 v1, 1.0
	s_and_saveexec_b64 s[0:1], vcc
	s_cbranch_execz .LBB2_303
; %bb.302:
	v_lshl_or_b32 v1, v40, 2, 12
	ds_read_b32 v1, v1 offset:4928
.LBB2_303:
	s_or_b64 exec, exec, s[0:1]
	s_waitcnt lgkmcnt(0)
	v_pk_mul_f32 v[14:15], v[14:15], v[18:19]
	v_pk_mul_f32 v[10:11], v[10:11], v[18:19]
	;; [unrolled: 1-line block ×4, first 2 shown]
	v_mul_f32_e32 v12, v12, v20
	v_mul_f32_e32 v4, v4, v20
	;; [unrolled: 1-line block ×8, first 2 shown]
.LBB2_304:
	s_lshl_b64 s[0:1], s[52:53], 2
	s_add_u32 s2, s50, s0
	v_or_b32_e32 v0, 48, v0
	s_addc_u32 s3, s51, s1
	v_cmp_gt_u32_e32 vcc, s49, v39
	v_lshlrev_b32_e32 v1, 2, v38
	v_lshlrev_b32_e32 v0, 2, v0
	s_and_saveexec_b64 s[0:1], vcc
	s_cbranch_execz .LBB2_308
; %bb.305:
	v_add_u32_e32 v18, s33, v39
	v_ashrrev_i32_e32 v19, 31, v18
	v_lshlrev_b64 v[18:19], 8, v[18:19]
	v_mov_b32_e32 v20, s3
	v_add_co_u32_e32 v21, vcc, s2, v18
	v_addc_co_u32_e32 v20, vcc, v20, v19, vcc
	v_add_co_u32_e32 v18, vcc, v21, v1
	v_addc_co_u32_e32 v19, vcc, 0, v20, vcc
	global_store_dword v[18:19], v10, off
	global_store_dword v[18:19], v2, off offset:64
	global_store_dword v[18:19], v6, off offset:128
	v_add_co_u32_e32 v18, vcc, v21, v0
	v_addc_co_u32_e32 v19, vcc, 0, v20, vcc
	global_store_dword v[18:19], v14, off
	s_or_b64 exec, exec, s[0:1]
	v_cmp_gt_u32_e32 vcc, s60, v44
	s_and_saveexec_b64 s[0:1], vcc
	s_cbranch_execnz .LBB2_309
.LBB2_306:
	s_or_b64 exec, exec, s[0:1]
	v_cmp_gt_u32_e32 vcc, s60, v43
	s_and_saveexec_b64 s[0:1], vcc
	s_cbranch_execz .LBB2_310
.LBB2_307:
	v_add_u32_e32 v2, s33, v43
	v_ashrrev_i32_e32 v3, 31, v2
	v_lshlrev_b64 v[2:3], 8, v[2:3]
	v_mov_b32_e32 v6, s3
	v_add_co_u32_e32 v7, vcc, s2, v2
	v_addc_co_u32_e32 v6, vcc, v6, v3, vcc
	v_add_co_u32_e32 v2, vcc, v7, v1
	v_addc_co_u32_e32 v3, vcc, 0, v6, vcc
	global_store_dword v[2:3], v12, off
	global_store_dword v[2:3], v4, off offset:64
	global_store_dword v[2:3], v8, off offset:128
	v_add_co_u32_e32 v2, vcc, v7, v0
	v_addc_co_u32_e32 v3, vcc, 0, v6, vcc
	global_store_dword v[2:3], v16, off
	s_or_b64 exec, exec, s[0:1]
	v_cmp_gt_u32_e32 vcc, s60, v42
	s_and_b64 exec, exec, vcc
	s_cbranch_execnz .LBB2_311
	s_branch .LBB2_312
.LBB2_308:
	s_or_b64 exec, exec, s[0:1]
	v_cmp_gt_u32_e32 vcc, s60, v44
	s_and_saveexec_b64 s[0:1], vcc
	s_cbranch_execz .LBB2_306
.LBB2_309:
	v_add_u32_e32 v18, s33, v44
	v_ashrrev_i32_e32 v19, 31, v18
	v_lshlrev_b64 v[18:19], 8, v[18:19]
	v_mov_b32_e32 v2, s3
	v_add_co_u32_e32 v6, vcc, s2, v18
	v_addc_co_u32_e32 v10, vcc, v2, v19, vcc
	v_add_co_u32_e32 v18, vcc, v6, v1
	v_addc_co_u32_e32 v19, vcc, 0, v10, vcc
	v_add_co_u32_e32 v2, vcc, v6, v0
	global_store_dword v[18:19], v11, off
	global_store_dword v[18:19], v3, off offset:64
	global_store_dword v[18:19], v7, off offset:128
	v_addc_co_u32_e32 v3, vcc, 0, v10, vcc
	global_store_dword v[2:3], v15, off
	s_or_b64 exec, exec, s[0:1]
	v_cmp_gt_u32_e32 vcc, s60, v43
	s_and_saveexec_b64 s[0:1], vcc
	s_cbranch_execnz .LBB2_307
.LBB2_310:
	s_or_b64 exec, exec, s[0:1]
	v_cmp_gt_u32_e32 vcc, s60, v42
	s_and_b64 exec, exec, vcc
	s_cbranch_execz .LBB2_312
.LBB2_311:
	v_add_u32_e32 v2, s33, v42
	v_ashrrev_i32_e32 v3, 31, v2
	v_lshlrev_b64 v[2:3], 8, v[2:3]
	v_mov_b32_e32 v4, s3
	v_add_co_u32_e32 v6, vcc, s2, v2
	v_addc_co_u32_e32 v4, vcc, v4, v3, vcc
	v_add_co_u32_e32 v2, vcc, v6, v1
	v_addc_co_u32_e32 v3, vcc, 0, v4, vcc
	;; [unrolled: 2-line block ×3, first 2 shown]
	global_store_dword v[2:3], v13, off
	global_store_dword v[2:3], v5, off offset:64
	global_store_dword v[2:3], v9, off offset:128
	global_store_dword v[0:1], v17, off
.LBB2_312:
	s_endpgm
	.section	.rodata,"a",@progbits
	.p2align	6, 0x0
	.amdhsa_kernel _Z22fa2_decode_mfma_head64IfLb1ELi16ELi16EEvPKfPKvS3_S1_PK14__hip_bfloat16PfiiiiiiiiPKiS9_xPKxS9_S9_i
		.amdhsa_group_segment_fixed_size 4992
		.amdhsa_private_segment_fixed_size 0
		.amdhsa_kernarg_size 132
		.amdhsa_user_sgpr_count 6
		.amdhsa_user_sgpr_private_segment_buffer 1
		.amdhsa_user_sgpr_dispatch_ptr 0
		.amdhsa_user_sgpr_queue_ptr 0
		.amdhsa_user_sgpr_kernarg_segment_ptr 1
		.amdhsa_user_sgpr_dispatch_id 0
		.amdhsa_user_sgpr_flat_scratch_init 0
		.amdhsa_user_sgpr_kernarg_preload_length 0
		.amdhsa_user_sgpr_kernarg_preload_offset 0
		.amdhsa_user_sgpr_private_segment_size 0
		.amdhsa_uses_dynamic_stack 0
		.amdhsa_system_sgpr_private_segment_wavefront_offset 0
		.amdhsa_system_sgpr_workgroup_id_x 1
		.amdhsa_system_sgpr_workgroup_id_y 1
		.amdhsa_system_sgpr_workgroup_id_z 0
		.amdhsa_system_sgpr_workgroup_info 0
		.amdhsa_system_vgpr_workitem_id 0
		.amdhsa_next_free_vgpr 96
		.amdhsa_next_free_sgpr 83
		.amdhsa_accum_offset 96
		.amdhsa_reserve_vcc 1
		.amdhsa_reserve_flat_scratch 0
		.amdhsa_float_round_mode_32 0
		.amdhsa_float_round_mode_16_64 0
		.amdhsa_float_denorm_mode_32 3
		.amdhsa_float_denorm_mode_16_64 3
		.amdhsa_dx10_clamp 1
		.amdhsa_ieee_mode 1
		.amdhsa_fp16_overflow 0
		.amdhsa_tg_split 0
		.amdhsa_exception_fp_ieee_invalid_op 0
		.amdhsa_exception_fp_denorm_src 0
		.amdhsa_exception_fp_ieee_div_zero 0
		.amdhsa_exception_fp_ieee_overflow 0
		.amdhsa_exception_fp_ieee_underflow 0
		.amdhsa_exception_fp_ieee_inexact 0
		.amdhsa_exception_int_div_zero 0
	.end_amdhsa_kernel
	.section	.text._Z22fa2_decode_mfma_head64IfLb1ELi16ELi16EEvPKfPKvS3_S1_PK14__hip_bfloat16PfiiiiiiiiPKiS9_xPKxS9_S9_i,"axG",@progbits,_Z22fa2_decode_mfma_head64IfLb1ELi16ELi16EEvPKfPKvS3_S1_PK14__hip_bfloat16PfiiiiiiiiPKiS9_xPKxS9_S9_i,comdat
.Lfunc_end2:
	.size	_Z22fa2_decode_mfma_head64IfLb1ELi16ELi16EEvPKfPKvS3_S1_PK14__hip_bfloat16PfiiiiiiiiPKiS9_xPKxS9_S9_i, .Lfunc_end2-_Z22fa2_decode_mfma_head64IfLb1ELi16ELi16EEvPKfPKvS3_S1_PK14__hip_bfloat16PfiiiiiiiiPKiS9_xPKxS9_S9_i
                                        ; -- End function
	.section	.AMDGPU.csdata,"",@progbits
; Kernel info:
; codeLenInByte = 11344
; NumSgprs: 87
; NumVgprs: 96
; NumAgprs: 0
; TotalNumVgprs: 96
; ScratchSize: 0
; MemoryBound: 0
; FloatMode: 240
; IeeeMode: 1
; LDSByteSize: 4992 bytes/workgroup (compile time only)
; SGPRBlocks: 10
; VGPRBlocks: 11
; NumSGPRsForWavesPerEU: 87
; NumVGPRsForWavesPerEU: 96
; AccumOffset: 96
; Occupancy: 5
; WaveLimiterHint : 1
; COMPUTE_PGM_RSRC2:SCRATCH_EN: 0
; COMPUTE_PGM_RSRC2:USER_SGPR: 6
; COMPUTE_PGM_RSRC2:TRAP_HANDLER: 0
; COMPUTE_PGM_RSRC2:TGID_X_EN: 1
; COMPUTE_PGM_RSRC2:TGID_Y_EN: 1
; COMPUTE_PGM_RSRC2:TGID_Z_EN: 0
; COMPUTE_PGM_RSRC2:TIDIG_COMP_CNT: 0
; COMPUTE_PGM_RSRC3_GFX90A:ACCUM_OFFSET: 23
; COMPUTE_PGM_RSRC3_GFX90A:TG_SPLIT: 0
	.section	.text._Z22fa2_decode_mfma_head64IfLb0ELi16ELi16EEvPKfPKvS3_S1_PK14__hip_bfloat16PfiiiiiiiiPKiS9_xPKxS9_S9_i,"axG",@progbits,_Z22fa2_decode_mfma_head64IfLb0ELi16ELi16EEvPKfPKvS3_S1_PK14__hip_bfloat16PfiiiiiiiiPKiS9_xPKxS9_S9_i,comdat
	.protected	_Z22fa2_decode_mfma_head64IfLb0ELi16ELi16EEvPKfPKvS3_S1_PK14__hip_bfloat16PfiiiiiiiiPKiS9_xPKxS9_S9_i ; -- Begin function _Z22fa2_decode_mfma_head64IfLb0ELi16ELi16EEvPKfPKvS3_S1_PK14__hip_bfloat16PfiiiiiiiiPKiS9_xPKxS9_S9_i
	.globl	_Z22fa2_decode_mfma_head64IfLb0ELi16ELi16EEvPKfPKvS3_S1_PK14__hip_bfloat16PfiiiiiiiiPKiS9_xPKxS9_S9_i
	.p2align	8
	.type	_Z22fa2_decode_mfma_head64IfLb0ELi16ELi16EEvPKfPKvS3_S1_PK14__hip_bfloat16PfiiiiiiiiPKiS9_xPKxS9_S9_i,@function
_Z22fa2_decode_mfma_head64IfLb0ELi16ELi16EEvPKfPKvS3_S1_PK14__hip_bfloat16PfiiiiiiiiPKiS9_xPKxS9_S9_i: ; @_Z22fa2_decode_mfma_head64IfLb0ELi16ELi16EEvPKfPKvS3_S1_PK14__hip_bfloat16PfiiiiiiiiPKiS9_xPKxS9_S9_i
; %bb.0:
	s_load_dword s0, s[4:5], 0x30
	s_load_dwordx2 s[38:39], s[4:5], 0x3c
	v_cmp_gt_u32_e32 vcc, 64, v0
	s_waitcnt lgkmcnt(0)
	s_cmp_lt_i32 s7, s0
	s_cselect_b64 s[0:1], -1, 0
	s_and_b64 s[0:1], vcc, s[0:1]
	s_cmp_gt_i32 s39, 0
	s_cselect_b64 s[8:9], -1, 0
	s_and_b64 s[0:1], s[0:1], s[8:9]
	s_and_saveexec_b64 s[8:9], s[0:1]
	s_cbranch_execz .LBB3_288
; %bb.1:
	s_load_dwordx2 s[16:17], s[4:5], 0x48
	s_mul_i32 s33, s6, s39
	s_waitcnt lgkmcnt(0)
	s_cmp_ge_i32 s33, s17
	s_cbranch_scc1 .LBB3_288
; %bb.2:
	s_mov_b32 s2, s7
	s_load_dwordx4 s[8:11], s[4:5], 0x50
	s_load_dwordx2 s[0:1], s[4:5], 0x78
	s_load_dwordx4 s[24:27], s[4:5], 0x68
	s_load_dwordx2 s[18:19], s[4:5], 0x0
	s_ashr_i32 s3, s7, 31
	s_lshl_b64 s[12:13], s[2:3], 2
	s_waitcnt lgkmcnt(0)
	s_add_u32 s14, s8, s12
	s_addc_u32 s15, s9, s13
	s_ashr_i32 s9, s16, 31
	s_mov_b32 s8, s16
	s_lshl_b64 s[28:29], s[8:9], 2
	s_add_u32 s20, s0, s28
	s_addc_u32 s21, s1, s29
	s_lshl_b64 s[0:1], s[8:9], 3
	s_add_u32 s22, s24, s0
	s_addc_u32 s23, s25, s1
	s_add_u32 s24, s26, s28
	s_addc_u32 s25, s27, s29
	;; [unrolled: 2-line block ×3, first 2 shown]
	v_cmp_gt_u32_e64 s[0:1], 16, v0
	v_lshlrev_b32_e32 v1, 2, v0
	s_and_saveexec_b64 s[8:9], s[0:1]
	s_cbranch_execz .LBB3_4
; %bb.3:
	v_mov_b32_e32 v2, 0xff800000
	v_mov_b32_e32 v3, 0
	v_add_u32_e32 v4, 0x1000, v1
	ds_write2_b32 v4, v3, v2 offset0:144 offset1:160
.LBB3_4:
	s_or_b64 exec, exec, s[8:9]
	s_load_dwordx4 s[8:11], s[4:5], 0x8
	s_load_dwordx4 s[40:43], s[4:5], 0x20
	s_load_dwordx2 s[12:13], s[22:23], 0x0
	s_load_dword s58, s[14:15], 0x0
	s_load_dword s28, s[20:21], 0x0
	;; [unrolled: 1-line block ×4, first 2 shown]
	s_mul_hi_i32 s15, s2, s17
	s_mul_i32 s14, s2, s17
	v_and_b32_e32 v38, 15, v0
	s_lshl_b64 s[2:3], s[14:15], 8
	v_add_u32_e32 v2, s33, v38
	s_add_u32 s16, s18, s2
	v_rsq_f32_e32 v4, 0x42800000
	v_ashrrev_i32_e32 v3, 31, v2
	s_addc_u32 s17, s19, s3
	v_lshlrev_b64 v[2:3], 8, v[2:3]
	v_lshrrev_b32_e32 v40, 2, v0
	v_mov_b32_e32 v6, s17
	v_add_co_u32_e32 v5, vcc, s16, v2
	v_and_b32_e32 v39, 12, v40
	v_mov_b32_e32 v23, 0
	v_cmp_gt_u32_e64 s[2:3], s39, v38
	v_addc_co_u32_e32 v6, vcc, v6, v3, vcc
	v_lshlrev_b32_e32 v41, 2, v39
	v_mov_b32_e32 v22, v23
	s_waitcnt lgkmcnt(0)
	s_barrier
	s_and_saveexec_b64 s[16:17], s[2:3]
	s_cbranch_execz .LBB3_22
; %bb.5:
	v_add_co_u32_e32 v2, vcc, v5, v41
	v_addc_co_u32_e32 v3, vcc, 0, v6, vcc
	global_load_dword v7, v[2:3], off
	s_mov_b32 s18, 0x7f800000
	s_waitcnt vmcnt(0)
	v_mul_f32_e32 v8, v4, v7
	v_and_b32_e32 v7, 0x7f800000, v8
	v_cmp_ne_u32_e32 vcc, s18, v7
                                        ; implicit-def: $vgpr7
	s_and_saveexec_b64 s[18:19], vcc
	s_xor_b64 s[18:19], exec, s[18:19]
; %bb.6:
	v_bfe_u32 v7, v8, 16, 1
	s_movk_i32 s20, 0x7fff
	v_add3_u32 v7, v8, v7, s20
                                        ; implicit-def: $vgpr8
; %bb.7:
	s_andn2_saveexec_b64 s[18:19], s[18:19]
; %bb.8:
	v_mov_b32_e32 v7, 0
	v_or_b32_e32 v9, 0x10000, v8
	v_cmp_eq_u32_sdwa vcc, v8, v7 src0_sel:WORD_0 src1_sel:DWORD
	v_cndmask_b32_e32 v7, v9, v8, vcc
; %bb.9:
	s_or_b64 exec, exec, s[18:19]
	global_load_dword v8, v[2:3], off offset:4
	s_mov_b32 s18, 0x7f800000
	s_waitcnt vmcnt(0)
	v_mul_f32_e32 v9, v4, v8
	v_and_b32_e32 v8, 0x7f800000, v9
	v_cmp_ne_u32_e32 vcc, s18, v8
                                        ; implicit-def: $vgpr8
	s_and_saveexec_b64 s[18:19], vcc
	s_xor_b64 s[18:19], exec, s[18:19]
; %bb.10:
	v_bfe_u32 v8, v9, 16, 1
	s_movk_i32 s20, 0x7fff
	v_add3_u32 v8, v9, v8, s20
                                        ; implicit-def: $vgpr9
; %bb.11:
	s_andn2_saveexec_b64 s[18:19], s[18:19]
; %bb.12:
	v_mov_b32_e32 v8, 0
	v_or_b32_e32 v10, 0x10000, v9
	v_cmp_eq_u32_sdwa vcc, v9, v8 src0_sel:WORD_0 src1_sel:DWORD
	v_cndmask_b32_e32 v8, v10, v9, vcc
; %bb.13:
	s_or_b64 exec, exec, s[18:19]
	global_load_dword v2, v[2:3], off offset:8
	s_mov_b32 s18, 0x7f800000
	s_waitcnt vmcnt(0)
	v_mul_f32_e32 v3, v4, v2
	v_and_b32_e32 v2, 0x7f800000, v3
	v_cmp_ne_u32_e32 vcc, s18, v2
                                        ; implicit-def: $vgpr2
	s_and_saveexec_b64 s[18:19], vcc
	s_xor_b64 s[18:19], exec, s[18:19]
; %bb.14:
	v_bfe_u32 v2, v3, 16, 1
	s_movk_i32 s20, 0x7fff
	v_add3_u32 v2, v3, v2, s20
                                        ; implicit-def: $vgpr3
; %bb.15:
	s_andn2_saveexec_b64 s[18:19], s[18:19]
; %bb.16:
	v_mov_b32_e32 v2, 0
	v_or_b32_e32 v9, 0x10000, v3
	v_cmp_eq_u32_sdwa vcc, v3, v2 src0_sel:WORD_0 src1_sel:DWORD
	v_cndmask_b32_e32 v2, v9, v3, vcc
; %bb.17:
	s_or_b64 exec, exec, s[18:19]
	v_lshl_or_b32 v3, v40, 2, 12
	v_add_co_u32_e32 v10, vcc, v5, v3
	v_addc_co_u32_e32 v11, vcc, 0, v6, vcc
	global_load_dword v3, v[10:11], off
	s_mov_b32 s18, 0x7f800000
	s_waitcnt vmcnt(0)
	v_mul_f32_e32 v3, v4, v3
	v_and_b32_e32 v9, 0x7f800000, v3
	v_cmp_ne_u32_e32 vcc, s18, v9
                                        ; implicit-def: $vgpr9
	s_and_saveexec_b64 s[18:19], vcc
	s_xor_b64 s[18:19], exec, s[18:19]
; %bb.18:
	v_bfe_u32 v9, v3, 16, 1
	s_movk_i32 s20, 0x7fff
	v_add3_u32 v9, v3, v9, s20
                                        ; implicit-def: $vgpr3
; %bb.19:
	s_andn2_saveexec_b64 s[18:19], s[18:19]
; %bb.20:
	v_mov_b32_e32 v9, 0
	v_or_b32_e32 v10, 0x10000, v3
	v_cmp_eq_u32_sdwa vcc, v3, v9 src0_sel:WORD_0 src1_sel:DWORD
	v_cndmask_b32_e32 v9, v10, v3, vcc
; %bb.21:
	s_or_b64 exec, exec, s[18:19]
	s_mov_b32 s18, 0x7060302
	v_perm_b32 v22, v8, v7, s18
	v_perm_b32 v23, v9, v2, s18
.LBB3_22:
	s_or_b64 exec, exec, s[16:17]
	v_mov_b32_e32 v25, 0
	s_lshl_b64 s[48:49], s[14:15], 6
	v_mov_b32_e32 v24, v25
	s_and_saveexec_b64 s[14:15], s[2:3]
	s_cbranch_execz .LBB3_40
; %bb.23:
	v_add_co_u32_e32 v2, vcc, v5, v41
	v_addc_co_u32_e32 v3, vcc, 0, v6, vcc
	global_load_dword v7, v[2:3], off offset:64
	s_mov_b32 s16, 0x7f800000
	s_waitcnt vmcnt(0)
	v_mul_f32_e32 v8, v4, v7
	v_and_b32_e32 v7, 0x7f800000, v8
	v_cmp_ne_u32_e32 vcc, s16, v7
                                        ; implicit-def: $vgpr7
	s_and_saveexec_b64 s[16:17], vcc
	s_xor_b64 s[16:17], exec, s[16:17]
; %bb.24:
	v_bfe_u32 v7, v8, 16, 1
	s_movk_i32 s18, 0x7fff
	v_add3_u32 v7, v8, v7, s18
                                        ; implicit-def: $vgpr8
; %bb.25:
	s_andn2_saveexec_b64 s[16:17], s[16:17]
; %bb.26:
	v_mov_b32_e32 v7, 0
	v_or_b32_e32 v9, 0x10000, v8
	v_cmp_eq_u32_sdwa vcc, v8, v7 src0_sel:WORD_0 src1_sel:DWORD
	v_cndmask_b32_e32 v7, v9, v8, vcc
; %bb.27:
	s_or_b64 exec, exec, s[16:17]
	global_load_dword v8, v[2:3], off offset:68
	s_mov_b32 s16, 0x7f800000
	s_waitcnt vmcnt(0)
	v_mul_f32_e32 v9, v4, v8
	v_and_b32_e32 v8, 0x7f800000, v9
	v_cmp_ne_u32_e32 vcc, s16, v8
                                        ; implicit-def: $vgpr8
	s_and_saveexec_b64 s[16:17], vcc
	s_xor_b64 s[16:17], exec, s[16:17]
; %bb.28:
	v_bfe_u32 v8, v9, 16, 1
	s_movk_i32 s18, 0x7fff
	v_add3_u32 v8, v9, v8, s18
                                        ; implicit-def: $vgpr9
; %bb.29:
	s_andn2_saveexec_b64 s[16:17], s[16:17]
; %bb.30:
	v_mov_b32_e32 v8, 0
	v_or_b32_e32 v10, 0x10000, v9
	v_cmp_eq_u32_sdwa vcc, v9, v8 src0_sel:WORD_0 src1_sel:DWORD
	v_cndmask_b32_e32 v8, v10, v9, vcc
; %bb.31:
	s_or_b64 exec, exec, s[16:17]
	global_load_dword v2, v[2:3], off offset:72
	s_mov_b32 s16, 0x7f800000
	s_waitcnt vmcnt(0)
	v_mul_f32_e32 v3, v4, v2
	v_and_b32_e32 v2, 0x7f800000, v3
	v_cmp_ne_u32_e32 vcc, s16, v2
                                        ; implicit-def: $vgpr2
	s_and_saveexec_b64 s[16:17], vcc
	s_xor_b64 s[16:17], exec, s[16:17]
; %bb.32:
	v_bfe_u32 v2, v3, 16, 1
	s_movk_i32 s18, 0x7fff
	v_add3_u32 v2, v3, v2, s18
                                        ; implicit-def: $vgpr3
; %bb.33:
	s_andn2_saveexec_b64 s[16:17], s[16:17]
; %bb.34:
	v_mov_b32_e32 v2, 0
	v_or_b32_e32 v9, 0x10000, v3
	v_cmp_eq_u32_sdwa vcc, v3, v2 src0_sel:WORD_0 src1_sel:DWORD
	v_cndmask_b32_e32 v2, v9, v3, vcc
; %bb.35:
	s_or_b64 exec, exec, s[16:17]
	v_mov_b32_e32 v3, 0x4c
	v_lshl_or_b32 v3, v40, 2, v3
	v_add_co_u32_e32 v10, vcc, v5, v3
	v_addc_co_u32_e32 v11, vcc, 0, v6, vcc
	global_load_dword v3, v[10:11], off
	s_mov_b32 s16, 0x7f800000
	s_waitcnt vmcnt(0)
	v_mul_f32_e32 v3, v4, v3
	v_and_b32_e32 v9, 0x7f800000, v3
	v_cmp_ne_u32_e32 vcc, s16, v9
                                        ; implicit-def: $vgpr9
	s_and_saveexec_b64 s[16:17], vcc
	s_xor_b64 s[16:17], exec, s[16:17]
; %bb.36:
	v_bfe_u32 v9, v3, 16, 1
	s_movk_i32 s18, 0x7fff
	v_add3_u32 v9, v3, v9, s18
                                        ; implicit-def: $vgpr3
; %bb.37:
	s_andn2_saveexec_b64 s[16:17], s[16:17]
; %bb.38:
	v_mov_b32_e32 v9, 0
	v_or_b32_e32 v10, 0x10000, v3
	v_cmp_eq_u32_sdwa vcc, v3, v9 src0_sel:WORD_0 src1_sel:DWORD
	v_cndmask_b32_e32 v9, v10, v3, vcc
; %bb.39:
	s_or_b64 exec, exec, s[16:17]
	s_mov_b32 s16, 0x7060302
	v_perm_b32 v24, v8, v7, s16
	v_perm_b32 v25, v9, v2, s16
.LBB3_40:
	s_or_b64 exec, exec, s[14:15]
	v_mov_b32_e32 v27, 0
	v_mov_b32_e32 v26, v27
	s_and_saveexec_b64 s[14:15], s[2:3]
	s_cbranch_execz .LBB3_58
; %bb.41:
	v_add_co_u32_e32 v2, vcc, v5, v41
	v_addc_co_u32_e32 v3, vcc, 0, v6, vcc
	global_load_dword v7, v[2:3], off offset:128
	s_mov_b32 s16, 0x7f800000
	s_waitcnt vmcnt(0)
	v_mul_f32_e32 v8, v4, v7
	v_and_b32_e32 v7, 0x7f800000, v8
	v_cmp_ne_u32_e32 vcc, s16, v7
                                        ; implicit-def: $vgpr7
	s_and_saveexec_b64 s[16:17], vcc
	s_xor_b64 s[16:17], exec, s[16:17]
; %bb.42:
	v_bfe_u32 v7, v8, 16, 1
	s_movk_i32 s18, 0x7fff
	v_add3_u32 v7, v8, v7, s18
                                        ; implicit-def: $vgpr8
; %bb.43:
	s_andn2_saveexec_b64 s[16:17], s[16:17]
; %bb.44:
	v_mov_b32_e32 v7, 0
	v_or_b32_e32 v9, 0x10000, v8
	v_cmp_eq_u32_sdwa vcc, v8, v7 src0_sel:WORD_0 src1_sel:DWORD
	v_cndmask_b32_e32 v7, v9, v8, vcc
; %bb.45:
	s_or_b64 exec, exec, s[16:17]
	global_load_dword v8, v[2:3], off offset:132
	s_mov_b32 s16, 0x7f800000
	s_waitcnt vmcnt(0)
	v_mul_f32_e32 v9, v4, v8
	v_and_b32_e32 v8, 0x7f800000, v9
	v_cmp_ne_u32_e32 vcc, s16, v8
                                        ; implicit-def: $vgpr8
	s_and_saveexec_b64 s[16:17], vcc
	s_xor_b64 s[16:17], exec, s[16:17]
; %bb.46:
	v_bfe_u32 v8, v9, 16, 1
	s_movk_i32 s18, 0x7fff
	v_add3_u32 v8, v9, v8, s18
                                        ; implicit-def: $vgpr9
; %bb.47:
	s_andn2_saveexec_b64 s[16:17], s[16:17]
; %bb.48:
	v_mov_b32_e32 v8, 0
	v_or_b32_e32 v10, 0x10000, v9
	v_cmp_eq_u32_sdwa vcc, v9, v8 src0_sel:WORD_0 src1_sel:DWORD
	v_cndmask_b32_e32 v8, v10, v9, vcc
; %bb.49:
	s_or_b64 exec, exec, s[16:17]
	global_load_dword v2, v[2:3], off offset:136
	s_mov_b32 s16, 0x7f800000
	s_waitcnt vmcnt(0)
	v_mul_f32_e32 v3, v4, v2
	v_and_b32_e32 v2, 0x7f800000, v3
	v_cmp_ne_u32_e32 vcc, s16, v2
                                        ; implicit-def: $vgpr2
	s_and_saveexec_b64 s[16:17], vcc
	s_xor_b64 s[16:17], exec, s[16:17]
; %bb.50:
	v_bfe_u32 v2, v3, 16, 1
	s_movk_i32 s18, 0x7fff
	v_add3_u32 v2, v3, v2, s18
                                        ; implicit-def: $vgpr3
; %bb.51:
	s_andn2_saveexec_b64 s[16:17], s[16:17]
; %bb.52:
	v_mov_b32_e32 v2, 0
	v_or_b32_e32 v9, 0x10000, v3
	v_cmp_eq_u32_sdwa vcc, v3, v2 src0_sel:WORD_0 src1_sel:DWORD
	v_cndmask_b32_e32 v2, v9, v3, vcc
; %bb.53:
	s_or_b64 exec, exec, s[16:17]
	v_mov_b32_e32 v3, 0x8c
	v_lshl_or_b32 v3, v40, 2, v3
	v_add_co_u32_e32 v10, vcc, v5, v3
	v_addc_co_u32_e32 v11, vcc, 0, v6, vcc
	global_load_dword v3, v[10:11], off
	s_mov_b32 s16, 0x7f800000
	s_waitcnt vmcnt(0)
	v_mul_f32_e32 v3, v4, v3
	v_and_b32_e32 v9, 0x7f800000, v3
	v_cmp_ne_u32_e32 vcc, s16, v9
                                        ; implicit-def: $vgpr9
	s_and_saveexec_b64 s[16:17], vcc
	s_xor_b64 s[16:17], exec, s[16:17]
; %bb.54:
	v_bfe_u32 v9, v3, 16, 1
	s_movk_i32 s18, 0x7fff
	v_add3_u32 v9, v3, v9, s18
                                        ; implicit-def: $vgpr3
; %bb.55:
	s_andn2_saveexec_b64 s[16:17], s[16:17]
; %bb.56:
	v_mov_b32_e32 v9, 0
	v_or_b32_e32 v10, 0x10000, v3
	v_cmp_eq_u32_sdwa vcc, v3, v9 src0_sel:WORD_0 src1_sel:DWORD
	v_cndmask_b32_e32 v9, v10, v3, vcc
; %bb.57:
	s_or_b64 exec, exec, s[16:17]
	s_mov_b32 s16, 0x7060302
	v_perm_b32 v26, v8, v7, s16
	v_perm_b32 v27, v9, v2, s16
.LBB3_58:
	s_or_b64 exec, exec, s[14:15]
	v_mov_b32_e32 v29, 0
	v_mov_b32_e32 v28, v29
	s_and_saveexec_b64 s[14:15], s[2:3]
	s_cbranch_execz .LBB3_76
; %bb.59:
	v_add_co_u32_e32 v2, vcc, v5, v41
	v_addc_co_u32_e32 v3, vcc, 0, v6, vcc
	global_load_dword v7, v[2:3], off offset:192
	s_mov_b32 s16, 0x7f800000
	s_waitcnt vmcnt(0)
	v_mul_f32_e32 v8, v4, v7
	v_and_b32_e32 v7, 0x7f800000, v8
	v_cmp_ne_u32_e32 vcc, s16, v7
                                        ; implicit-def: $vgpr7
	s_and_saveexec_b64 s[16:17], vcc
	s_xor_b64 s[16:17], exec, s[16:17]
; %bb.60:
	v_bfe_u32 v7, v8, 16, 1
	s_movk_i32 s18, 0x7fff
	v_add3_u32 v7, v8, v7, s18
                                        ; implicit-def: $vgpr8
; %bb.61:
	s_andn2_saveexec_b64 s[16:17], s[16:17]
; %bb.62:
	v_mov_b32_e32 v7, 0
	v_or_b32_e32 v9, 0x10000, v8
	v_cmp_eq_u32_sdwa vcc, v8, v7 src0_sel:WORD_0 src1_sel:DWORD
	v_cndmask_b32_e32 v7, v9, v8, vcc
; %bb.63:
	s_or_b64 exec, exec, s[16:17]
	global_load_dword v8, v[2:3], off offset:196
	s_mov_b32 s16, 0x7f800000
	s_waitcnt vmcnt(0)
	v_mul_f32_e32 v9, v4, v8
	v_and_b32_e32 v8, 0x7f800000, v9
	v_cmp_ne_u32_e32 vcc, s16, v8
                                        ; implicit-def: $vgpr8
	s_and_saveexec_b64 s[16:17], vcc
	s_xor_b64 s[16:17], exec, s[16:17]
; %bb.64:
	v_bfe_u32 v8, v9, 16, 1
	s_movk_i32 s18, 0x7fff
	v_add3_u32 v8, v9, v8, s18
                                        ; implicit-def: $vgpr9
; %bb.65:
	s_andn2_saveexec_b64 s[16:17], s[16:17]
; %bb.66:
	v_mov_b32_e32 v8, 0
	v_or_b32_e32 v10, 0x10000, v9
	v_cmp_eq_u32_sdwa vcc, v9, v8 src0_sel:WORD_0 src1_sel:DWORD
	v_cndmask_b32_e32 v8, v10, v9, vcc
; %bb.67:
	s_or_b64 exec, exec, s[16:17]
	global_load_dword v2, v[2:3], off offset:200
	s_mov_b32 s16, 0x7f800000
	s_waitcnt vmcnt(0)
	v_mul_f32_e32 v3, v4, v2
	v_and_b32_e32 v2, 0x7f800000, v3
	v_cmp_ne_u32_e32 vcc, s16, v2
                                        ; implicit-def: $vgpr2
	s_and_saveexec_b64 s[16:17], vcc
	s_xor_b64 s[16:17], exec, s[16:17]
; %bb.68:
	v_bfe_u32 v2, v3, 16, 1
	s_movk_i32 s18, 0x7fff
	v_add3_u32 v2, v3, v2, s18
                                        ; implicit-def: $vgpr3
; %bb.69:
	s_andn2_saveexec_b64 s[16:17], s[16:17]
; %bb.70:
	v_mov_b32_e32 v2, 0
	v_or_b32_e32 v9, 0x10000, v3
	v_cmp_eq_u32_sdwa vcc, v3, v2 src0_sel:WORD_0 src1_sel:DWORD
	v_cndmask_b32_e32 v2, v9, v3, vcc
; %bb.71:
	s_or_b64 exec, exec, s[16:17]
	v_mov_b32_e32 v3, 0xcc
	v_lshl_or_b32 v3, v40, 2, v3
	v_add_co_u32_e32 v10, vcc, v5, v3
	v_addc_co_u32_e32 v11, vcc, 0, v6, vcc
	global_load_dword v3, v[10:11], off
	s_mov_b32 s16, 0x7f800000
	s_waitcnt vmcnt(0)
	v_mul_f32_e32 v3, v4, v3
	v_and_b32_e32 v4, 0x7f800000, v3
	v_cmp_ne_u32_e32 vcc, s16, v4
                                        ; implicit-def: $vgpr4
	s_and_saveexec_b64 s[16:17], vcc
	s_xor_b64 s[16:17], exec, s[16:17]
; %bb.72:
	v_bfe_u32 v4, v3, 16, 1
	s_movk_i32 s18, 0x7fff
	v_add3_u32 v4, v3, v4, s18
                                        ; implicit-def: $vgpr3
; %bb.73:
	s_andn2_saveexec_b64 s[16:17], s[16:17]
; %bb.74:
	v_mov_b32_e32 v4, 0
	v_or_b32_e32 v5, 0x10000, v3
	v_cmp_eq_u32_sdwa vcc, v3, v4 src0_sel:WORD_0 src1_sel:DWORD
	v_cndmask_b32_e32 v4, v5, v3, vcc
; %bb.75:
	s_or_b64 exec, exec, s[16:17]
	s_mov_b32 s16, 0x7060302
	v_perm_b32 v28, v8, v7, s16
	v_perm_b32 v29, v4, v2, s16
.LBB3_76:
	s_or_b64 exec, exec, s[14:15]
	s_sub_i32 s14, s58, s59
	s_max_i32 s14, s14, -1
	s_add_i32 s16, s14, 1
	s_mov_b32 s44, 0
	s_cmp_lg_u32 s28, 0
	s_mov_b32 s45, s44
	s_cselect_b64 s[50:51], -1, 0
	s_mov_b32 s46, s44
	s_mov_b32 s47, s44
	v_pk_mov_b32 v[10:11], s[44:45], s[44:45] op_sel:[0,1]
	s_and_b64 s[14:15], s[50:51], exec
	v_pk_mov_b32 v[12:13], s[46:47], s[46:47] op_sel:[0,1]
	s_cselect_b32 s61, s16, 0
	s_min_u32 s60, s39, 16
	v_pk_mov_b32 v[2:3], v[10:11], v[10:11] op_sel:[0,1]
	v_pk_mov_b32 v[6:7], v[10:11], v[10:11] op_sel:[0,1]
	;; [unrolled: 1-line block ×3, first 2 shown]
	s_cmp_le_i32 s61, s58
	v_cmp_gt_u32_e64 s[30:31], s39, v39
	v_cmp_eq_u32_e64 s[28:29], 0, v38
	v_or_b32_e32 v44, 1, v39
	v_or_b32_e32 v43, 2, v39
	;; [unrolled: 1-line block ×3, first 2 shown]
	v_pk_mov_b32 v[4:5], v[12:13], v[12:13] op_sel:[0,1]
	v_pk_mov_b32 v[8:9], v[12:13], v[12:13] op_sel:[0,1]
	;; [unrolled: 1-line block ×3, first 2 shown]
	s_cbranch_scc0 .LBB3_241
; %bb.77:
	s_load_dword s4, s[4:5], 0x80
	s_mul_i32 s16, s59, s38
	s_mul_hi_i32 s15, s59, s38
	s_mul_hi_u32 s17, s16, s7
	s_mul_i32 s15, s15, s7
	s_waitcnt lgkmcnt(0)
	s_add_i32 s5, s4, -1
	s_cmp_lt_u32 s5, 16
	s_cselect_b32 s62, s4, 16
	s_add_i32 s64, s59, -1
	s_add_i32 s63, s58, 1
	s_and_b32 s4, s59, s64
	s_cmp_lg_u32 s4, 0
	s_cselect_b64 s[46:47], -1, 0
	s_ashr_i32 s14, s7, 31
	s_mul_i32 s14, s16, s14
	s_add_i32 s14, s17, s14
	v_mbcnt_lo_u32_b32 v2, -1, 0
	s_ashr_i32 s5, s38, 31
	s_add_i32 s14, s14, s15
	s_mul_i32 s16, s16, s7
	v_mbcnt_hi_u32_b32 v2, -1, v2
	s_add_u32 s12, s16, s12
	v_lshlrev_b32_e32 v4, 2, v2
	v_lshlrev_b32_e32 v5, 5, v38
	s_addc_u32 s13, s14, s13
	v_and_b32_e32 v47, 0x1c0, v4
	v_lshlrev_b32_e32 v4, 1, v39
	v_or_b32_e32 v6, 0x800, v5
	v_lshlrev_b32_e32 v7, 1, v42
	s_lshl_b64 s[12:13], s[12:13], 2
	v_or_b32_e32 v48, v6, v4
	v_add_u32_e32 v49, v6, v7
	v_lshlrev_b32_e32 v6, 5, v0
	s_add_u32 s8, s8, s12
	v_or_b32_e32 v8, 0x600, v6
	s_addc_u32 s9, s9, s13
	v_add_u32_e32 v8, 0x800, v8
	s_add_u32 s10, s10, s12
	v_or_b32_e32 v50, v8, v4
	v_add_u32_e32 v51, v8, v7
	v_mov_b32_e32 v8, s9
	v_add_co_u32_e32 v52, vcc, s8, v1
	s_addc_u32 s11, s11, s13
	v_addc_co_u32_e32 v53, vcc, 0, v8, vcc
	v_mov_b32_e32 v8, s11
	v_add_co_u32_e32 v54, vcc, s10, v1
	v_addc_co_u32_e32 v55, vcc, 0, v8, vcc
	v_lshlrev_b32_e32 v8, 1, v40
	v_and_b32_e32 v3, 15, v2
	v_lshlrev_b32_e32 v1, 7, v38
	v_or_b32_e32 v9, 38, v8
	v_add_u32_e32 v58, v1, v9
	v_or_b32_e32 v9, 0x46, v8
	v_or_b32_e32 v8, 0x66, v8
	v_cmp_gt_u32_e32 vcc, 8, v3
	v_or_b32_e32 v56, v1, v4
	v_add_u32_e32 v57, v1, v7
	v_add_u32_e32 v59, v1, v9
	;; [unrolled: 1-line block ×3, first 2 shown]
	v_cndmask_b32_e64 v1, 0, 1, vcc
	v_lshlrev_b32_e32 v1, 3, v1
	v_cmp_gt_u32_e32 vcc, 12, v3
	v_add_lshl_u32 v61, v1, v2, 2
	v_cndmask_b32_e64 v1, 0, 1, vcc
	v_lshlrev_b32_e32 v1, 2, v1
	v_cmp_gt_u32_e32 vcc, 14, v3
	v_add_lshl_u32 v62, v1, v2, 2
	v_cndmask_b32_e64 v1, 0, 1, vcc
	v_lshlrev_b32_e32 v1, 1, v1
	v_cmp_ne_u32_e32 vcc, 15, v3
	s_mov_b32 s4, s38
	v_add_lshl_u32 v63, v1, v2, 2
	v_addc_co_u32_e32 v1, vcc, 0, v2, vcc
	s_lshl_b64 s[54:55], s[4:5], 2
	s_movk_i32 s4, 0x100
	v_lshlrev_b32_e32 v64, 2, v1
	v_lshlrev_b32_e32 v1, 2, v42
	v_cmp_gt_u32_e64 s[8:9], s4, v0
	v_add_u32_e32 v67, 0x1200, v1
	v_add_u32_e32 v68, 0x1280, v1
	;; [unrolled: 1-line block ×5, first 2 shown]
	v_lshlrev_b32_e32 v1, 1, v38
	v_lshlrev_b32_e32 v2, 5, v39
	s_movk_i32 s4, 0x1000
	v_or3_b32 v73, v2, v1, s4
	v_lshl_or_b32 v1, v42, 5, v1
	s_abs_i32 s38, s59
	v_add_u32_e32 v74, 0x1000, v1
	v_cvt_f32_u32_e32 v1, s38
	v_or_b32_e32 v2, 0x1000, v5
	v_or_b32_e32 v75, v2, v4
	v_add_u32_e32 v76, v2, v7
	v_rcp_iflag_f32_e32 v2, v1
	s_sub_i32 s4, 0, s38
	s_ashr_i32 s7, s6, 31
	s_lshl_b64 s[52:53], s[6:7], 8
	v_mul_f32_e32 v2, 0x4f7ffffe, v2
	v_cvt_u32_f32_e32 v2, v2
	v_mov_b32_e32 v45, 0x12c0
	v_mov_b32_e32 v79, 0
	v_lshl_or_b32 v46, v38, 2, v45
	v_mul_lo_u32 v3, s4, v2
	v_mul_hi_u32 v3, v2, v3
	v_cmp_le_u32_e64 s[10:11], s39, v39
	v_cmp_le_u32_e64 s[12:13], s60, v44
	v_cmp_gt_u32_e64 s[14:15], s60, v44
	v_cmp_le_u32_e64 s[16:17], s60, v43
	v_cmp_gt_u32_e64 s[18:19], s60, v43
	;; [unrolled: 2-line block ×3, first 2 shown]
	v_or_b32_e32 v65, 0x1200, v41
	v_or_b32_e32 v66, 0x1280, v41
	v_cmp_gt_u32_e64 s[24:25], 64, v0
	v_or_b32_e32 v69, 0x1300, v41
	v_or_b32_e32 v1, 64, v0
	s_mov_b32 s65, s54
	s_mov_b32 s66, s55
	;; [unrolled: 1-line block ×4, first 2 shown]
	v_add_u32_e32 v77, v2, v3
	s_sub_i32 s69, s63, s61
	v_add_u32_e32 v78, 0x800, v6
	s_mov_b32 s70, 0x7f800000
	s_movk_i32 s71, 0x7fff
	s_mov_b32 s72, 0xffff
	s_mov_b32 s73, 0x7060302
	;; [unrolled: 1-line block ×6, first 2 shown]
	v_mov_b32_e32 v10, 0
	v_mov_b32_e32 v11, v79
	;; [unrolled: 1-line block ×16, first 2 shown]
	v_or_b32_e32 v80, 0x1340, v41
	v_or_b32_e32 v81, 0x1240, v41
	v_lshlrev_b32_e32 v82, 1, v0
	v_mov_b32_e32 v83, 0xff800000
	v_mov_b32_e32 v31, 0
	s_branch .LBB3_79
.LBB3_78:                               ;   in Loop: Header=BB3_79 Depth=1
	s_or_b64 exec, exec, s[4:5]
	v_mul_f32_e32 v10, v10, v84
	v_mul_f32_e32 v11, v11, v85
	;; [unrolled: 1-line block ×16, first 2 shown]
	v_mfma_f32_16x16x16bf16_1k v[10:13], v[18:19], v[20:21], v[10:13]
	s_add_i32 s77, s77, s62
	s_add_i32 s76, s76, 1
	s_sub_i32 s69, s69, s62
	s_cmp_gt_i32 s77, s58
	s_barrier
	v_mfma_f32_16x16x16bf16_1k v[2:5], v[18:19], v[32:33], v[2:5]
	v_mfma_f32_16x16x16bf16_1k v[6:9], v[18:19], v[34:35], v[6:9]
	;; [unrolled: 1-line block ×3, first 2 shown]
	s_cbranch_scc1 .LBB3_241
.LBB3_79:                               ; =>This Loop Header: Depth=1
                                        ;     Child Loop BB3_86 Depth 2
                                        ;     Child Loop BB3_96 Depth 2
	s_sub_i32 s4, s63, s77
	s_min_i32 s78, s4, s62
	v_cmp_le_i32_e64 s[26:27], s78, v38
	v_cmp_gt_i32_e64 s[4:5], s78, v38
	s_mov_b64 s[34:35], 0
                                        ; implicit-def: $vgpr18
	s_and_saveexec_b64 s[6:7], s[4:5]
	s_xor_b64 s[6:7], exec, s[6:7]
	s_cbranch_execnz .LBB3_88
; %bb.80:                               ;   in Loop: Header=BB3_79 Depth=1
	s_andn2_saveexec_b64 s[6:7], s[6:7]
	s_cbranch_execnz .LBB3_240
.LBB3_81:                               ;   in Loop: Header=BB3_79 Depth=1
	s_or_b64 exec, exec, s[6:7]
	s_and_saveexec_b64 s[6:7], s[34:35]
	s_cbranch_execz .LBB3_83
.LBB3_82:                               ;   in Loop: Header=BB3_79 Depth=1
	ds_write_b32 v46, v18
.LBB3_83:                               ;   in Loop: Header=BB3_79 Depth=1
	s_or_b64 exec, exec, s[6:7]
	s_min_i32 s79, s78, 16
	s_lshl_b32 s45, s79, 6
	v_cmp_gt_i32_e32 vcc, s45, v0
	s_waitcnt lgkmcnt(0)
	s_barrier
	s_and_saveexec_b64 s[56:57], vcc
	s_cbranch_execz .LBB3_104
; %bb.84:                               ;   in Loop: Header=BB3_79 Depth=1
	s_mul_i32 s6, s62, s76
	s_add_i32 s6, s61, s6
	s_sub_i32 s6, s63, s6
	v_mov_b32_e32 v18, s6
	v_min3_i32 v18, s62, v18, 16
	v_readfirstlane_b32 s6, v18
	s_add_i32 s6, s6, -1
	s_and_b32 s80, s6, 0x3ffffff
	s_cmp_lg_u32 s80, 0
	s_cbranch_scc0 .LBB3_93
; %bb.85:                               ;   in Loop: Header=BB3_79 Depth=1
	v_mov_b32_e32 v18, s69
	v_min3_i32 v18, s62, v18, 16
	v_readfirstlane_b32 s6, v18
	s_add_i32 s6, s6, -1
	s_and_b32 s6, s6, 0x3ffffff
	s_add_i32 s6, s6, 1
	s_and_b32 s81, s6, 0x7fffffe
	v_pk_mov_b32 v[18:19], v[0:1], v[0:1] op_sel:[0,1]
.LBB3_86:                               ;   Parent Loop BB3_79 Depth=1
                                        ; =>  This Inner Loop Header: Depth=2
	v_lshrrev_b32_e32 v30, 6, v18
	v_lshl_add_u32 v34, v30, 2, v45
	ds_read2_b32 v[34:35], v34 offset1:1
	v_mov_b32_e32 v20, s67
	v_mov_b32_e32 v21, s68
	;; [unrolled: 1-line block ×4, first 2 shown]
	s_waitcnt lgkmcnt(0)
	v_ashrrev_i32_e32 v37, 31, v35
	v_ashrrev_i32_e32 v36, 31, v34
	v_mad_u64_u32 v[20:21], s[6:7], s65, v35, v[20:21]
	v_mul_lo_u32 v35, s66, v35
	v_mul_lo_u32 v37, s65, v37
	v_mad_u64_u32 v[32:33], s[6:7], s54, v34, v[32:33]
	v_mul_lo_u32 v84, s55, v34
	v_mul_lo_u32 v85, s54, v36
	v_add_co_u32_e32 v34, vcc, v52, v20
	v_add_co_u32_e64 v20, s[34:35], v54, v20
	v_add3_u32 v21, v35, v21, v37
	v_add_co_u32_e64 v36, s[6:7], v54, v32
	v_add_co_u32_e64 v32, s[36:37], v52, v32
	v_add3_u32 v37, v84, v33, v85
	v_addc_co_u32_e32 v35, vcc, v53, v21, vcc
	v_addc_co_u32_e64 v21, vcc, v55, v21, s[34:35]
	v_addc_co_u32_e64 v33, s[36:37], v53, v37, s[36:37]
	v_addc_co_u32_e64 v37, vcc, v55, v37, s[6:7]
	global_load_dword v34, v[34:35], off
	s_nop 0
	global_load_dword v35, v[36:37], off
	s_nop 0
	global_load_dword v20, v[20:21], off
	s_nop 0
	global_load_dword v21, v[32:33], off
	v_lshlrev_b32_e32 v32, 1, v19
	s_add_i32 s81, s81, -2
	v_add_u32_e32 v19, 0x80, v19
	v_add_u32_e32 v18, 0x80, v18
	v_lshl_add_u32 v33, v30, 7, v82
	v_and_b32_e32 v32, 0xffffff80, v32
	v_lshlrev_b32_e32 v30, 1, v30
	s_cmp_lg_u32 s81, 0
	v_add_u32_e32 v32, v32, v82
	v_lshl_add_u32 v30, v0, 5, v30
	s_waitcnt vmcnt(3)
	v_bfe_u32 v84, v34, 16, 1
	v_or_b32_e32 v86, 0x10000, v34
	v_cmp_eq_u32_sdwa vcc, v34, v79 src0_sel:WORD_0 src1_sel:DWORD
	s_waitcnt vmcnt(0)
	v_and_b32_e32 v37, 0x7f800000, v21
	v_bfe_u32 v85, v21, 16, 1
	v_or_b32_e32 v87, 0x10000, v21
	v_and_b32_e32 v88, 0x7f800000, v35
	v_and_b32_e32 v89, 0x7f800000, v20
	v_bfe_u32 v90, v35, 16, 1
	v_bfe_u32 v91, v20, 16, 1
	v_or_b32_e32 v92, 0x10000, v35
	v_cmp_eq_u32_sdwa s[6:7], v35, v79 src0_sel:WORD_0 src1_sel:DWORD
	v_or_b32_e32 v93, 0x10000, v20
	v_cmp_eq_u32_sdwa s[34:35], v20, v79 src0_sel:WORD_0 src1_sel:DWORD
	v_cmp_eq_u32_sdwa s[36:37], v21, v79 src0_sel:WORD_0 src1_sel:DWORD
	v_and_b32_e32 v36, 0x7f800000, v34
	v_add3_u32 v85, v21, v85, s71
	v_cndmask_b32_e64 v21, v87, v21, s[36:37]
	v_cmp_eq_u32_e64 s[36:37], s70, v37
	v_add3_u32 v37, v34, v84, s71
	v_cndmask_b32_e32 v34, v86, v34, vcc
	v_add3_u32 v84, v20, v91, s71
	v_cndmask_b32_e64 v20, v93, v20, s[34:35]
	v_cmp_eq_u32_e32 vcc, s70, v89
	v_add3_u32 v86, v35, v90, s71
	v_cndmask_b32_e64 v35, v92, v35, s[6:7]
	v_cmp_eq_u32_e64 s[6:7], s70, v88
	v_cmp_eq_u32_e64 s[34:35], s70, v36
	v_cndmask_b32_e64 v21, v85, v21, s[36:37]
	v_cndmask_b32_e64 v35, v86, v35, s[6:7]
	v_cndmask_b32_e32 v20, v84, v20, vcc
	v_cndmask_b32_e64 v34, v37, v34, s[34:35]
	v_perm_b32 v20, v20, v35, s73
	ds_write_b16_d16_hi v33, v21
	ds_write_b16_d16_hi v32, v34
	ds_write_b32 v30, v20 offset:2048
	s_cbranch_scc1 .LBB3_86
; %bb.87:                               ;   in Loop: Header=BB3_79 Depth=1
	s_add_i32 s80, s80, 1
	s_and_b32 s6, s80, 0x7fffffe
	s_cmp_lg_u32 s80, s6
	v_lshl_or_b32 v18, s6, 6, v0
	s_cselect_b64 s[6:7], -1, 0
	s_and_b64 vcc, exec, s[6:7]
	s_cbranch_vccnz .LBB3_94
	s_branch .LBB3_104
.LBB3_88:                               ;   in Loop: Header=BB3_79 Depth=1
	s_andn2_b64 vcc, exec, s[50:51]
	v_add_u32_e32 v18, s77, v38
	s_cbranch_vccnz .LBB3_239
; %bb.89:                               ;   in Loop: Header=BB3_79 Depth=1
	s_and_b64 vcc, exec, s[46:47]
	s_cbranch_vccz .LBB3_236
; %bb.90:                               ;   in Loop: Header=BB3_79 Depth=1
	v_cmp_le_i32_e32 vcc, s59, v18
	v_mov_b32_e32 v19, v18
	s_and_saveexec_b64 s[34:35], vcc
	s_cbranch_execz .LBB3_92
; %bb.91:                               ;   in Loop: Header=BB3_79 Depth=1
	v_sub_u32_e32 v20, 0, v18
	v_max_i32_e32 v20, v18, v20
	v_mul_hi_u32 v21, v20, v77
	v_mul_lo_u32 v21, v21, s38
	v_sub_u32_e32 v20, v20, v21
	v_subrev_u32_e32 v21, s38, v20
	v_cmp_le_u32_e32 vcc, s38, v20
	v_cndmask_b32_e32 v20, v20, v21, vcc
	v_subrev_u32_e32 v21, s38, v20
	v_cmp_le_u32_e32 vcc, s38, v20
	v_ashrrev_i32_e32 v19, 31, v18
	v_cndmask_b32_e32 v20, v20, v21, vcc
	v_xor_b32_e32 v20, v20, v19
	v_sub_u32_e32 v19, v20, v19
.LBB3_92:                               ;   in Loop: Header=BB3_79 Depth=1
	s_or_b64 exec, exec, s[34:35]
	s_cbranch_execz .LBB3_237
	s_branch .LBB3_238
.LBB3_93:                               ;   in Loop: Header=BB3_79 Depth=1
	v_mov_b32_e32 v18, v0
	s_cbranch_execz .LBB3_104
.LBB3_94:                               ;   in Loop: Header=BB3_79 Depth=1
	v_lshrrev_b32_e32 v21, 6, v18
	v_lshl_add_u32 v19, v21, 1, v78
	v_lshl_add_u32 v20, v21, 7, v82
	;; [unrolled: 1-line block ×3, first 2 shown]
	s_mov_b64 s[6:7], 0
	s_branch .LBB3_96
.LBB3_95:                               ;   in Loop: Header=BB3_96 Depth=2
	s_or_b64 exec, exec, s[34:35]
	v_add_u32_e32 v18, 64, v18
	v_cmp_le_i32_e32 vcc, s45, v18
	ds_write_b16_d16_hi v20, v32
	ds_write_b16_d16_hi v19, v33
	v_add_u32_e32 v19, 2, v19
	v_add_u32_e32 v20, 0x80, v20
	s_or_b64 s[6:7], vcc, s[6:7]
	v_add_u32_e32 v21, 4, v21
	s_andn2_b64 exec, exec, s[6:7]
	s_cbranch_execz .LBB3_104
.LBB3_96:                               ;   Parent Loop BB3_79 Depth=1
                                        ; =>  This Inner Loop Header: Depth=2
	ds_read_b32 v30, v21
	v_pk_mov_b32 v[32:33], s[52:53], s[52:53] op_sel:[0,1]
	s_waitcnt lgkmcnt(0)
	v_ashrrev_i32_e32 v34, 31, v30
	v_mad_u64_u32 v[32:33], s[34:35], s54, v30, v[32:33]
	v_mul_lo_u32 v30, s55, v30
	v_mul_lo_u32 v34, s54, v34
	v_add3_u32 v30, v30, v33, v34
	v_add_co_u32_e32 v34, vcc, v52, v32
	v_addc_co_u32_e32 v35, vcc, v53, v30, vcc
	global_load_dword v33, v[34:35], off
	v_add_co_u32_e32 v34, vcc, v54, v32
	v_addc_co_u32_e32 v35, vcc, v55, v30, vcc
	global_load_dword v30, v[34:35], off
	s_waitcnt vmcnt(1)
	v_and_b32_e32 v32, 0x7f800000, v33
	v_cmp_ne_u32_e32 vcc, s70, v32
                                        ; implicit-def: $vgpr32
	s_and_saveexec_b64 s[34:35], vcc
	s_xor_b64 s[34:35], exec, s[34:35]
; %bb.97:                               ;   in Loop: Header=BB3_96 Depth=2
	v_bfe_u32 v32, v33, 16, 1
	v_add3_u32 v32, v33, v32, s71
                                        ; implicit-def: $vgpr33
; %bb.98:                               ;   in Loop: Header=BB3_96 Depth=2
	s_andn2_saveexec_b64 s[34:35], s[34:35]
; %bb.99:                               ;   in Loop: Header=BB3_96 Depth=2
	v_or_b32_e32 v32, 0x10000, v33
	v_cmp_eq_u32_sdwa vcc, v33, v79 src0_sel:WORD_0 src1_sel:DWORD
	v_cndmask_b32_e32 v32, v32, v33, vcc
; %bb.100:                              ;   in Loop: Header=BB3_96 Depth=2
	s_or_b64 exec, exec, s[34:35]
	s_waitcnt vmcnt(0)
	v_and_b32_e32 v33, 0x7f800000, v30
	v_cmp_ne_u32_e32 vcc, s70, v33
                                        ; implicit-def: $vgpr33
	s_and_saveexec_b64 s[34:35], vcc
	s_xor_b64 s[34:35], exec, s[34:35]
; %bb.101:                              ;   in Loop: Header=BB3_96 Depth=2
	v_bfe_u32 v33, v30, 16, 1
	v_add3_u32 v33, v30, v33, s71
                                        ; implicit-def: $vgpr30
; %bb.102:                              ;   in Loop: Header=BB3_96 Depth=2
	s_andn2_saveexec_b64 s[34:35], s[34:35]
	s_cbranch_execz .LBB3_95
; %bb.103:                              ;   in Loop: Header=BB3_96 Depth=2
	v_or_b32_e32 v33, 0x10000, v30
	v_cmp_eq_u32_sdwa vcc, v30, v79 src0_sel:WORD_0 src1_sel:DWORD
	v_cndmask_b32_e32 v33, v33, v30, vcc
	s_branch .LBB3_95
.LBB3_104:                              ;   in Loop: Header=BB3_79 Depth=1
	s_or_b64 exec, exec, s[56:57]
	v_mov_b32_e32 v34, 0
	v_mov_b32_e32 v18, 0
	;; [unrolled: 1-line block ×3, first 2 shown]
	s_waitcnt lgkmcnt(0)
	s_barrier
	s_and_saveexec_b64 s[6:7], s[4:5]
	s_cbranch_execz .LBB3_108
; %bb.105:                              ;   in Loop: Header=BB3_79 Depth=1
	ds_read_u16 v19, v56 offset:4
	ds_read_b32 v18, v56
	s_waitcnt lgkmcnt(1)
	v_and_b32_e32 v19, 0xffff, v19
	s_and_saveexec_b64 s[34:35], s[8:9]
	s_cbranch_execz .LBB3_107
; %bb.106:                              ;   in Loop: Header=BB3_79 Depth=1
	ds_read_u16 v20, v57
	s_waitcnt lgkmcnt(0)
	v_perm_b32 v19, v20, v19, s74
.LBB3_107:                              ;   in Loop: Header=BB3_79 Depth=1
	s_or_b64 exec, exec, s[34:35]
.LBB3_108:                              ;   in Loop: Header=BB3_79 Depth=1
	s_or_b64 exec, exec, s[6:7]
	s_waitcnt lgkmcnt(0)
	v_mfma_f32_16x16x16bf16_1k v[18:21], v[22:23], v[18:19], 0
	v_mov_b32_e32 v35, 0
	s_and_saveexec_b64 s[6:7], s[4:5]
	s_cbranch_execz .LBB3_112
; %bb.109:                              ;   in Loop: Header=BB3_79 Depth=1
	ds_read_u16 v30, v56 offset:36
	ds_read_b32 v34, v56 offset:32
	s_waitcnt lgkmcnt(1)
	v_and_b32_e32 v35, 0xffff, v30
	s_and_saveexec_b64 s[34:35], s[8:9]
	s_cbranch_execz .LBB3_111
; %bb.110:                              ;   in Loop: Header=BB3_79 Depth=1
	ds_read_u16 v30, v58
	s_waitcnt lgkmcnt(0)
	v_perm_b32 v35, v30, v35, s74
.LBB3_111:                              ;   in Loop: Header=BB3_79 Depth=1
	s_or_b64 exec, exec, s[34:35]
.LBB3_112:                              ;   in Loop: Header=BB3_79 Depth=1
	s_or_b64 exec, exec, s[6:7]
	s_waitcnt lgkmcnt(0)
	v_mfma_f32_16x16x16bf16_1k v[18:21], v[24:25], v[34:35], v[18:21]
	v_mov_b32_e32 v32, 0
	v_mov_b32_e32 v36, 0
	;; [unrolled: 1-line block ×3, first 2 shown]
	s_and_saveexec_b64 s[6:7], s[4:5]
	s_cbranch_execz .LBB3_116
; %bb.113:                              ;   in Loop: Header=BB3_79 Depth=1
	ds_read_u16 v30, v56 offset:68
	ds_read_b32 v36, v56 offset:64
	s_waitcnt lgkmcnt(1)
	v_and_b32_e32 v37, 0xffff, v30
	s_and_saveexec_b64 s[34:35], s[8:9]
	s_cbranch_execz .LBB3_115
; %bb.114:                              ;   in Loop: Header=BB3_79 Depth=1
	ds_read_u16 v30, v59
	s_waitcnt lgkmcnt(0)
	v_perm_b32 v37, v30, v37, s74
.LBB3_115:                              ;   in Loop: Header=BB3_79 Depth=1
	s_or_b64 exec, exec, s[34:35]
.LBB3_116:                              ;   in Loop: Header=BB3_79 Depth=1
	s_or_b64 exec, exec, s[6:7]
	s_waitcnt lgkmcnt(0)
	v_mfma_f32_16x16x16bf16_1k v[18:21], v[26:27], v[36:37], v[18:21]
	s_mov_b64 s[34:35], -1
	s_mov_b64 s[36:37], -1
	v_mov_b32_e32 v33, 0
	s_and_saveexec_b64 s[6:7], s[4:5]
	s_cbranch_execz .LBB3_120
; %bb.117:                              ;   in Loop: Header=BB3_79 Depth=1
	ds_read_u16 v30, v56 offset:100
	ds_read_b32 v32, v56 offset:96
	s_waitcnt lgkmcnt(1)
	v_and_b32_e32 v33, 0xffff, v30
	s_and_saveexec_b64 s[34:35], s[8:9]
	s_cbranch_execz .LBB3_119
; %bb.118:                              ;   in Loop: Header=BB3_79 Depth=1
	ds_read_u16 v30, v60
	s_waitcnt lgkmcnt(0)
	v_perm_b32 v33, v30, v33, s74
.LBB3_119:                              ;   in Loop: Header=BB3_79 Depth=1
	s_or_b64 exec, exec, s[34:35]
	s_orn2_b64 s[36:37], s[16:17], exec
	s_orn2_b64 s[34:35], s[12:13], exec
.LBB3_120:                              ;   in Loop: Header=BB3_79 Depth=1
	s_or_b64 exec, exec, s[6:7]
	s_waitcnt lgkmcnt(0)
	v_mfma_f32_16x16x16bf16_1k v[18:21], v[28:29], v[32:33], v[18:21]
	s_or_b64 s[6:7], s[26:27], s[10:11]
	s_nop 7
	s_nop 1
	v_cndmask_b32_e64 v32, v18, v83, s[6:7]
	v_cndmask_b32_e64 v18, v20, v83, s[36:37]
	ds_bpermute_b32 v20, v61, v32
	v_cndmask_b32_e64 v19, v19, v83, s[34:35]
	s_or_b64 s[34:35], s[26:27], s[20:21]
	v_cndmask_b32_e64 v30, v21, v83, s[34:35]
	v_max_f32_e32 v21, v32, v32
	s_waitcnt lgkmcnt(0)
	v_max_f32_e32 v20, v20, v20
	v_max_f32_e32 v20, v21, v20
	ds_bpermute_b32 v21, v62, v20
	ds_bpermute_b32 v33, v61, v19
	v_max_f32_e32 v34, v19, v19
	ds_bpermute_b32 v35, v61, v18
	ds_bpermute_b32 v37, v61, v30
	s_waitcnt lgkmcnt(3)
	v_max_f32_e32 v21, v21, v21
	v_max_f32_e32 v20, v20, v21
	ds_bpermute_b32 v21, v63, v20
	s_waitcnt lgkmcnt(3)
	v_max_f32_e32 v33, v33, v33
	v_max_f32_e32 v33, v34, v33
	ds_bpermute_b32 v34, v62, v33
	v_max_f32_e32 v36, v18, v18
	s_waitcnt lgkmcnt(1)
	v_max_f32_e32 v21, v21, v21
	v_max_f32_e32 v20, v20, v21
	ds_bpermute_b32 v21, v64, v20
	s_waitcnt lgkmcnt(1)
	v_max_f32_e32 v34, v34, v34
	v_max_f32_e32 v35, v35, v35
	;; [unrolled: 1-line block ×4, first 2 shown]
	s_waitcnt lgkmcnt(0)
	v_max_f32_e32 v21, v21, v21
	ds_bpermute_b32 v34, v63, v33
	v_max_f32_e32 v20, v20, v21
	v_max_f32_e32 v21, v30, v30
	v_max_f32_e32 v37, v37, v37
	ds_bpermute_b32 v36, v62, v35
	v_max_f32_e32 v21, v21, v37
	ds_bpermute_b32 v37, v62, v21
	s_waitcnt lgkmcnt(2)
	v_max_f32_e32 v34, v34, v34
	v_max_f32_e32 v33, v33, v34
	s_waitcnt lgkmcnt(1)
	v_max_f32_e32 v36, v36, v36
	ds_bpermute_b32 v34, v64, v33
	v_max_f32_e32 v35, v35, v36
	s_waitcnt lgkmcnt(1)
	v_max_f32_e32 v37, v37, v37
	ds_bpermute_b32 v36, v63, v35
	v_max_f32_e32 v21, v21, v37
	ds_bpermute_b32 v37, v63, v21
	s_waitcnt lgkmcnt(2)
	v_max_f32_e32 v34, v34, v34
	v_max_f32_e32 v33, v33, v34
	s_waitcnt lgkmcnt(1)
	v_max_f32_e32 v34, v36, v36
	v_max_f32_e32 v35, v35, v34
	s_waitcnt lgkmcnt(0)
	v_max_f32_e32 v34, v37, v37
	ds_bpermute_b32 v36, v64, v35
	v_max_f32_e32 v21, v21, v34
	ds_bpermute_b32 v37, v64, v21
	ds_bpermute_b32 v34, v47, v33
	;; [unrolled: 1-line block ×3, first 2 shown]
	s_waitcnt lgkmcnt(3)
	v_max_f32_e32 v33, v36, v36
	v_max_f32_e32 v33, v35, v33
	s_waitcnt lgkmcnt(2)
	v_max_f32_e32 v35, v37, v37
	v_max_f32_e32 v21, v21, v35
	ds_bpermute_b32 v33, v47, v33
	ds_bpermute_b32 v21, v47, v21
	s_and_saveexec_b64 s[36:37], s[28:29]
	s_cbranch_execz .LBB3_123
; %bb.121:                              ;   in Loop: Header=BB3_79 Depth=1
	ds_read_b96 v[84:86], v66
	s_waitcnt lgkmcnt(4)
	v_max_f32_e32 v34, v34, v34
	s_waitcnt lgkmcnt(3)
	v_max_f32_e32 v20, v20, v20
	;; [unrolled: 2-line block ×3, first 2 shown]
	v_max_f32_e32 v36, v84, v84
	v_max_f32_e32 v35, v35, v34
	;; [unrolled: 1-line block ×6, first 2 shown]
	ds_write_b96 v65, v[84:86]
	ds_write_b96 v66, v[34:36]
	s_and_b64 exec, exec, s[24:25]
	s_cbranch_execz .LBB3_123
; %bb.122:                              ;   in Loop: Header=BB3_79 Depth=1
	ds_read_b32 v20, v68
	v_max_f32_e32 v21, v21, v21
	s_waitcnt lgkmcnt(0)
	ds_write_b32 v67, v20
	v_max_f32_e32 v20, v20, v20
	v_max_f32_e32 v20, v20, v21
	ds_write_b32 v68, v20
.LBB3_123:                              ;   in Loop: Header=BB3_79 Depth=1
	s_or_b64 exec, exec, s[36:37]
	s_waitcnt lgkmcnt(2)
	v_mov_b32_e32 v20, 0
	s_waitcnt lgkmcnt(0)
	v_mov_b32_e32 v21, 0
	s_barrier
	s_and_saveexec_b64 s[36:37], s[4:5]
	s_cbranch_execz .LBB3_125
; %bb.124:                              ;   in Loop: Header=BB3_79 Depth=1
	ds_read_b32 v21, v66
	s_waitcnt lgkmcnt(0)
	v_sub_f32_e32 v32, v32, v21
	v_mul_f32_e32 v32, 0x3fb8aa3b, v32
	v_exp_f32_e32 v32, v32
	v_cmp_lg_f32_e32 vcc, s75, v21
	s_and_b64 vcc, s[30:31], vcc
	v_cndmask_b32_e32 v21, 0, v32, vcc
.LBB3_125:                              ;   in Loop: Header=BB3_79 Depth=1
	s_or_b64 exec, exec, s[36:37]
	ds_bpermute_b32 v32, v61, v21
	s_waitcnt lgkmcnt(0)
	v_add_f32_e32 v32, v21, v32
	ds_bpermute_b32 v33, v62, v32
	s_waitcnt lgkmcnt(0)
	v_add_f32_e32 v32, v32, v33
	;; [unrolled: 3-line block ×4, first 2 shown]
	ds_bpermute_b32 v34, v47, v32
	s_and_saveexec_b64 s[36:37], s[4:5]
	s_cbranch_execz .LBB3_127
; %bb.126:                              ;   in Loop: Header=BB3_79 Depth=1
	ds_read_b32 v20, v66 offset:4
	s_waitcnt lgkmcnt(0)
	v_sub_f32_e32 v19, v19, v20
	v_mul_f32_e32 v19, 0x3fb8aa3b, v19
	v_exp_f32_e32 v19, v19
	v_cmp_lg_f32_e32 vcc, s75, v20
	s_and_b64 vcc, s[14:15], vcc
	v_cndmask_b32_e32 v20, 0, v19, vcc
.LBB3_127:                              ;   in Loop: Header=BB3_79 Depth=1
	s_or_b64 exec, exec, s[36:37]
	ds_bpermute_b32 v19, v61, v20
	s_waitcnt lgkmcnt(0)
	v_add_f32_e32 v19, v20, v19
	ds_bpermute_b32 v32, v62, v19
	s_waitcnt lgkmcnt(0)
	v_add_f32_e32 v19, v19, v32
	;; [unrolled: 3-line block ×4, first 2 shown]
	ds_bpermute_b32 v33, v47, v19
	v_mov_b32_e32 v19, 0
	s_and_saveexec_b64 s[36:37], s[4:5]
	s_cbranch_execz .LBB3_129
; %bb.128:                              ;   in Loop: Header=BB3_79 Depth=1
	ds_read_b32 v19, v66 offset:8
	s_waitcnt lgkmcnt(0)
	v_sub_f32_e32 v18, v18, v19
	v_mul_f32_e32 v18, 0x3fb8aa3b, v18
	v_exp_f32_e32 v18, v18
	v_cmp_lg_f32_e32 vcc, s75, v19
	s_and_b64 vcc, s[18:19], vcc
	v_cndmask_b32_e32 v19, 0, v18, vcc
.LBB3_129:                              ;   in Loop: Header=BB3_79 Depth=1
	s_or_b64 exec, exec, s[36:37]
	ds_bpermute_b32 v18, v61, v19
	v_mov_b32_e32 v35, 0xff800000
	s_waitcnt lgkmcnt(0)
	v_add_f32_e32 v18, v19, v18
	ds_bpermute_b32 v32, v62, v18
	s_waitcnt lgkmcnt(0)
	v_add_f32_e32 v18, v18, v32
	ds_bpermute_b32 v32, v63, v18
	;; [unrolled: 3-line block ×4, first 2 shown]
	s_and_saveexec_b64 s[36:37], s[24:25]
	s_cbranch_execz .LBB3_131
; %bb.130:                              ;   in Loop: Header=BB3_79 Depth=1
	ds_read_b32 v35, v68
.LBB3_131:                              ;   in Loop: Header=BB3_79 Depth=1
	s_or_b64 exec, exec, s[36:37]
	v_mov_b32_e32 v18, 0
	s_and_saveexec_b64 s[36:37], s[4:5]
	s_cbranch_execz .LBB3_133
; %bb.132:                              ;   in Loop: Header=BB3_79 Depth=1
	s_waitcnt lgkmcnt(0)
	v_sub_f32_e32 v18, v30, v35
	v_mul_f32_e32 v18, 0x3fb8aa3b, v18
	v_exp_f32_e32 v18, v18
	v_cmp_lg_f32_e32 vcc, s75, v35
	s_and_b64 vcc, s[22:23], vcc
	v_cndmask_b32_e32 v18, 0, v18, vcc
.LBB3_133:                              ;   in Loop: Header=BB3_79 Depth=1
	s_or_b64 exec, exec, s[36:37]
	ds_bpermute_b32 v30, v61, v18
	s_waitcnt lgkmcnt(0)
	v_add_f32_e32 v30, v18, v30
	ds_bpermute_b32 v35, v62, v30
	s_waitcnt lgkmcnt(0)
	v_add_f32_e32 v30, v30, v35
	;; [unrolled: 3-line block ×4, first 2 shown]
	ds_bpermute_b32 v30, v47, v30
	s_and_saveexec_b64 s[36:37], s[28:29]
	s_cbranch_execz .LBB3_160
; %bb.134:                              ;   in Loop: Header=BB3_79 Depth=1
	s_and_saveexec_b64 s[4:5], s[10:11]
	s_xor_b64 s[4:5], exec, s[4:5]
	s_cbranch_execnz .LBB3_142
; %bb.135:                              ;   in Loop: Header=BB3_79 Depth=1
	s_andn2_saveexec_b64 s[56:57], s[4:5]
	s_cbranch_execnz .LBB3_143
.LBB3_136:                              ;   in Loop: Header=BB3_79 Depth=1
	s_or_b64 exec, exec, s[56:57]
	s_and_saveexec_b64 s[4:5], s[12:13]
	s_xor_b64 s[4:5], exec, s[4:5]
	s_cbranch_execnz .LBB3_146
.LBB3_137:                              ;   in Loop: Header=BB3_79 Depth=1
	s_andn2_saveexec_b64 s[56:57], s[4:5]
	s_cbranch_execnz .LBB3_147
.LBB3_138:                              ;   in Loop: Header=BB3_79 Depth=1
	s_or_b64 exec, exec, s[56:57]
	s_and_saveexec_b64 s[4:5], s[16:17]
	s_xor_b64 s[4:5], exec, s[4:5]
	s_cbranch_execnz .LBB3_150
.LBB3_139:                              ;   in Loop: Header=BB3_79 Depth=1
	s_andn2_saveexec_b64 s[56:57], s[4:5]
	s_cbranch_execnz .LBB3_151
.LBB3_140:                              ;   in Loop: Header=BB3_79 Depth=1
	s_or_b64 exec, exec, s[56:57]
	s_and_saveexec_b64 s[4:5], s[20:21]
	s_xor_b64 s[4:5], exec, s[4:5]
	s_cbranch_execnz .LBB3_154
.LBB3_141:                              ;   in Loop: Header=BB3_79 Depth=1
	s_andn2_saveexec_b64 s[4:5], s[4:5]
	s_cbranch_execnz .LBB3_157
	s_branch .LBB3_160
.LBB3_142:                              ;   in Loop: Header=BB3_79 Depth=1
	ds_write_b32 v80, v31
	ds_write_b32 v69, v31
                                        ; implicit-def: $vgpr34
	s_andn2_saveexec_b64 s[56:57], s[4:5]
	s_cbranch_execz .LBB3_136
.LBB3_143:                              ;   in Loop: Header=BB3_79 Depth=1
	ds_read_b32 v37, v65
	ds_read_b32 v35, v81
	v_mov_b32_e32 v36, 0
	s_waitcnt lgkmcnt(1)
	v_cmp_neq_f32_e32 vcc, s75, v37
	s_and_saveexec_b64 s[4:5], vcc
	s_cbranch_execz .LBB3_145
; %bb.144:                              ;   in Loop: Header=BB3_79 Depth=1
	ds_read_b32 v36, v66
	s_waitcnt lgkmcnt(0)
	v_sub_f32_e32 v36, v37, v36
	v_mul_f32_e32 v36, 0x3fb8aa3b, v36
	v_exp_f32_e32 v36, v36
.LBB3_145:                              ;   in Loop: Header=BB3_79 Depth=1
	s_or_b64 exec, exec, s[4:5]
	s_waitcnt lgkmcnt(0)
	v_mul_f32_e32 v37, v35, v36
	v_fmac_f32_e32 v34, v35, v36
	v_div_scale_f32 v35, s[4:5], v34, v34, v37
	v_rcp_f32_e32 v36, v35
	v_fma_f32 v84, -v35, v36, 1.0
	v_fmac_f32_e32 v36, v84, v36
	v_div_scale_f32 v84, vcc, v37, v34, v37
	v_mul_f32_e32 v85, v84, v36
	v_fma_f32 v86, -v35, v85, v84
	v_fmac_f32_e32 v85, v86, v36
	v_fma_f32 v35, -v35, v85, v84
	v_div_fmas_f32 v35, v35, v36, v85
	v_div_scale_f32 v36, s[4:5], v34, v34, 1.0
	v_rcp_f32_e32 v84, v36
	v_div_fixup_f32 v35, v35, v34, v37
	v_cmp_lt_f32_e64 s[4:5], 0, v34
	v_cndmask_b32_e64 v35, 0, v35, s[4:5]
	v_fma_f32 v37, -v36, v84, 1.0
	v_fmac_f32_e32 v84, v37, v84
	v_div_scale_f32 v37, vcc, 1.0, v34, 1.0
	v_mul_f32_e32 v85, v37, v84
	v_fma_f32 v86, -v36, v85, v37
	v_fmac_f32_e32 v85, v86, v84
	v_fma_f32 v36, -v36, v85, v37
	v_div_fmas_f32 v36, v36, v84, v85
	v_div_fixup_f32 v36, v36, v34, 1.0
	v_cndmask_b32_e64 v36, 0, v36, s[4:5]
	ds_write_b32 v80, v35
	ds_write_b32 v69, v36
	ds_write_b32 v81, v34
	s_or_b64 exec, exec, s[56:57]
	s_and_saveexec_b64 s[4:5], s[12:13]
	s_xor_b64 s[4:5], exec, s[4:5]
	s_cbranch_execz .LBB3_137
.LBB3_146:                              ;   in Loop: Header=BB3_79 Depth=1
	ds_write_b32 v80, v31 offset:4
	ds_write_b32 v69, v31 offset:4
                                        ; implicit-def: $vgpr33
	s_andn2_saveexec_b64 s[56:57], s[4:5]
	s_cbranch_execz .LBB3_138
.LBB3_147:                              ;   in Loop: Header=BB3_79 Depth=1
	ds_read_b32 v36, v65 offset:4
	ds_read_b32 v34, v81 offset:4
	v_mov_b32_e32 v35, 0
	s_waitcnt lgkmcnt(1)
	v_cmp_neq_f32_e32 vcc, s75, v36
	s_and_saveexec_b64 s[4:5], vcc
	s_cbranch_execz .LBB3_149
; %bb.148:                              ;   in Loop: Header=BB3_79 Depth=1
	ds_read_b32 v35, v66 offset:4
	s_waitcnt lgkmcnt(0)
	v_sub_f32_e32 v35, v36, v35
	v_mul_f32_e32 v35, 0x3fb8aa3b, v35
	v_exp_f32_e32 v35, v35
.LBB3_149:                              ;   in Loop: Header=BB3_79 Depth=1
	s_or_b64 exec, exec, s[4:5]
	s_waitcnt lgkmcnt(0)
	v_mul_f32_e32 v36, v34, v35
	v_fmac_f32_e32 v33, v34, v35
	v_div_scale_f32 v34, s[4:5], v33, v33, v36
	v_rcp_f32_e32 v35, v34
	v_fma_f32 v37, -v34, v35, 1.0
	v_fmac_f32_e32 v35, v37, v35
	v_div_scale_f32 v37, vcc, v36, v33, v36
	v_mul_f32_e32 v84, v37, v35
	v_fma_f32 v85, -v34, v84, v37
	v_fmac_f32_e32 v84, v85, v35
	v_fma_f32 v34, -v34, v84, v37
	v_div_fmas_f32 v34, v34, v35, v84
	v_div_scale_f32 v35, s[4:5], v33, v33, 1.0
	v_rcp_f32_e32 v37, v35
	v_div_fixup_f32 v34, v34, v33, v36
	v_cmp_lt_f32_e64 s[4:5], 0, v33
	v_cndmask_b32_e64 v34, 0, v34, s[4:5]
	v_fma_f32 v36, -v35, v37, 1.0
	v_fmac_f32_e32 v37, v36, v37
	v_div_scale_f32 v36, vcc, 1.0, v33, 1.0
	v_mul_f32_e32 v84, v36, v37
	v_fma_f32 v85, -v35, v84, v36
	v_fmac_f32_e32 v84, v85, v37
	v_fma_f32 v35, -v35, v84, v36
	v_div_fmas_f32 v35, v35, v37, v84
	v_div_fixup_f32 v35, v35, v33, 1.0
	v_cndmask_b32_e64 v35, 0, v35, s[4:5]
	ds_write_b32 v80, v34 offset:4
	ds_write_b32 v69, v35 offset:4
	;; [unrolled: 1-line block ×3, first 2 shown]
	s_or_b64 exec, exec, s[56:57]
	s_and_saveexec_b64 s[4:5], s[16:17]
	s_xor_b64 s[4:5], exec, s[4:5]
	s_cbranch_execz .LBB3_139
.LBB3_150:                              ;   in Loop: Header=BB3_79 Depth=1
	ds_write_b32 v80, v31 offset:8
	ds_write_b32 v69, v31 offset:8
                                        ; implicit-def: $vgpr32
	s_andn2_saveexec_b64 s[56:57], s[4:5]
	s_cbranch_execz .LBB3_140
.LBB3_151:                              ;   in Loop: Header=BB3_79 Depth=1
	ds_read_b32 v35, v65 offset:8
	ds_read_b32 v33, v81 offset:8
	v_mov_b32_e32 v34, 0
	s_waitcnt lgkmcnt(1)
	v_cmp_neq_f32_e32 vcc, s75, v35
	s_and_saveexec_b64 s[4:5], vcc
	s_cbranch_execz .LBB3_153
; %bb.152:                              ;   in Loop: Header=BB3_79 Depth=1
	ds_read_b32 v34, v66 offset:8
	s_waitcnt lgkmcnt(0)
	v_sub_f32_e32 v34, v35, v34
	v_mul_f32_e32 v34, 0x3fb8aa3b, v34
	v_exp_f32_e32 v34, v34
.LBB3_153:                              ;   in Loop: Header=BB3_79 Depth=1
	s_or_b64 exec, exec, s[4:5]
	s_waitcnt lgkmcnt(0)
	v_mul_f32_e32 v35, v33, v34
	v_fmac_f32_e32 v32, v33, v34
	v_div_scale_f32 v33, s[4:5], v32, v32, v35
	v_rcp_f32_e32 v34, v33
	v_fma_f32 v36, -v33, v34, 1.0
	v_fmac_f32_e32 v34, v36, v34
	v_div_scale_f32 v36, vcc, v35, v32, v35
	v_mul_f32_e32 v37, v36, v34
	v_fma_f32 v84, -v33, v37, v36
	v_fmac_f32_e32 v37, v84, v34
	v_fma_f32 v33, -v33, v37, v36
	v_div_fmas_f32 v33, v33, v34, v37
	v_div_scale_f32 v34, s[4:5], v32, v32, 1.0
	v_rcp_f32_e32 v36, v34
	v_div_fixup_f32 v33, v33, v32, v35
	v_cmp_lt_f32_e64 s[4:5], 0, v32
	v_cndmask_b32_e64 v33, 0, v33, s[4:5]
	v_fma_f32 v35, -v34, v36, 1.0
	v_fmac_f32_e32 v36, v35, v36
	v_div_scale_f32 v35, vcc, 1.0, v32, 1.0
	v_mul_f32_e32 v37, v35, v36
	v_fma_f32 v84, -v34, v37, v35
	v_fmac_f32_e32 v37, v84, v36
	v_fma_f32 v34, -v34, v37, v35
	v_div_fmas_f32 v34, v34, v36, v37
	v_div_fixup_f32 v34, v34, v32, 1.0
	v_cndmask_b32_e64 v34, 0, v34, s[4:5]
	ds_write_b32 v80, v33 offset:8
	ds_write_b32 v69, v34 offset:8
	;; [unrolled: 1-line block ×3, first 2 shown]
	s_or_b64 exec, exec, s[56:57]
	s_and_saveexec_b64 s[4:5], s[20:21]
	s_xor_b64 s[4:5], exec, s[4:5]
	s_cbranch_execz .LBB3_141
.LBB3_154:                              ;   in Loop: Header=BB3_79 Depth=1
	s_and_saveexec_b64 s[56:57], s[24:25]
	s_cbranch_execz .LBB3_156
; %bb.155:                              ;   in Loop: Header=BB3_79 Depth=1
	ds_write_b32 v71, v31
	ds_write_b32 v70, v31
.LBB3_156:                              ;   in Loop: Header=BB3_79 Depth=1
	s_or_b64 exec, exec, s[56:57]
                                        ; implicit-def: $vgpr30
	s_andn2_saveexec_b64 s[4:5], s[4:5]
	s_cbranch_execz .LBB3_160
.LBB3_157:                              ;   in Loop: Header=BB3_79 Depth=1
	ds_read_b32 v34, v67
	ds_read_b32 v32, v72
	v_mov_b32_e32 v33, 0
	s_waitcnt lgkmcnt(1)
	v_cmp_neq_f32_e32 vcc, s75, v34
	s_and_saveexec_b64 s[4:5], vcc
	s_cbranch_execz .LBB3_159
; %bb.158:                              ;   in Loop: Header=BB3_79 Depth=1
	ds_read_b32 v33, v68
	s_waitcnt lgkmcnt(0)
	v_sub_f32_e32 v33, v34, v33
	v_mul_f32_e32 v33, 0x3fb8aa3b, v33
	v_exp_f32_e32 v33, v33
.LBB3_159:                              ;   in Loop: Header=BB3_79 Depth=1
	s_or_b64 exec, exec, s[4:5]
	s_waitcnt lgkmcnt(0)
	v_mul_f32_e32 v34, v32, v33
	v_fmac_f32_e32 v30, v32, v33
	v_div_scale_f32 v32, s[4:5], v30, v30, v34
	v_rcp_f32_e32 v33, v32
	v_fma_f32 v35, -v32, v33, 1.0
	v_fmac_f32_e32 v33, v35, v33
	v_div_scale_f32 v35, vcc, v34, v30, v34
	v_mul_f32_e32 v36, v35, v33
	v_fma_f32 v37, -v32, v36, v35
	v_fmac_f32_e32 v36, v37, v33
	v_fma_f32 v32, -v32, v36, v35
	v_div_fmas_f32 v32, v32, v33, v36
	v_div_scale_f32 v33, s[4:5], v30, v30, 1.0
	v_rcp_f32_e32 v35, v33
	v_div_fixup_f32 v32, v32, v30, v34
	v_cmp_lt_f32_e64 s[4:5], 0, v30
	v_cndmask_b32_e64 v32, 0, v32, s[4:5]
	v_fma_f32 v34, -v33, v35, 1.0
	v_fmac_f32_e32 v35, v34, v35
	v_div_scale_f32 v34, vcc, 1.0, v30, 1.0
	v_mul_f32_e32 v36, v34, v35
	v_fma_f32 v37, -v33, v36, v34
	v_fmac_f32_e32 v36, v37, v35
	v_fma_f32 v33, -v33, v36, v34
	v_div_fmas_f32 v33, v33, v35, v36
	v_div_fixup_f32 v33, v33, v30, 1.0
	v_cndmask_b32_e64 v33, 0, v33, s[4:5]
	ds_write_b32 v71, v32
	ds_write_b32 v70, v33
	;; [unrolled: 1-line block ×3, first 2 shown]
.LBB3_160:                              ;   in Loop: Header=BB3_79 Depth=1
	s_or_b64 exec, exec, s[36:37]
	s_xor_b64 s[6:7], s[6:7], -1
	s_xor_b64 s[4:5], s[34:35], -1
	s_waitcnt lgkmcnt(0)
	v_mov_b32_e32 v30, 0
	v_mov_b32_e32 v84, 0
	s_barrier
	s_and_saveexec_b64 s[34:35], s[30:31]
	s_cbranch_execz .LBB3_162
; %bb.161:                              ;   in Loop: Header=BB3_79 Depth=1
	ds_read_b32 v84, v80
.LBB3_162:                              ;   in Loop: Header=BB3_79 Depth=1
	s_or_b64 exec, exec, s[34:35]
	s_and_saveexec_b64 s[34:35], s[6:7]
	s_cbranch_execz .LBB3_164
; %bb.163:                              ;   in Loop: Header=BB3_79 Depth=1
	ds_read_b32 v30, v69
	s_waitcnt lgkmcnt(0)
	v_mul_f32_e32 v30, v21, v30
.LBB3_164:                              ;   in Loop: Header=BB3_79 Depth=1
	s_or_b64 exec, exec, s[34:35]
	v_and_b32_e32 v21, 0x7f800000, v30
	v_cmp_ne_u32_e32 vcc, s70, v21
                                        ; implicit-def: $vgpr21
	s_and_saveexec_b64 s[6:7], vcc
	s_xor_b64 s[6:7], exec, s[6:7]
; %bb.165:                              ;   in Loop: Header=BB3_79 Depth=1
	v_bfe_u32 v21, v30, 16, 1
	v_add3_u32 v21, v30, v21, s71
                                        ; implicit-def: $vgpr30
; %bb.166:                              ;   in Loop: Header=BB3_79 Depth=1
	s_andn2_saveexec_b64 s[6:7], s[6:7]
; %bb.167:                              ;   in Loop: Header=BB3_79 Depth=1
	v_or_b32_e32 v21, 0x10000, v30
	v_cmp_eq_u32_sdwa vcc, v30, v79 src0_sel:WORD_0 src1_sel:DWORD
	v_cndmask_b32_e32 v21, v21, v30, vcc
; %bb.168:                              ;   in Loop: Header=BB3_79 Depth=1
	s_or_b64 exec, exec, s[6:7]
	ds_write_b16_d16_hi v73, v21
	v_mov_b32_e32 v21, 0
	v_mov_b32_e32 v85, 0
	s_and_saveexec_b64 s[6:7], s[14:15]
	s_cbranch_execz .LBB3_170
; %bb.169:                              ;   in Loop: Header=BB3_79 Depth=1
	ds_read_b32 v85, v80 offset:4
.LBB3_170:                              ;   in Loop: Header=BB3_79 Depth=1
	s_or_b64 exec, exec, s[6:7]
	s_or_b64 s[6:7], s[26:27], s[12:13]
	s_xor_b64 s[34:35], s[6:7], -1
	s_and_saveexec_b64 s[6:7], s[34:35]
	s_cbranch_execz .LBB3_172
; %bb.171:                              ;   in Loop: Header=BB3_79 Depth=1
	ds_read_b32 v21, v69 offset:4
	s_waitcnt lgkmcnt(0)
	v_mul_f32_e32 v21, v20, v21
.LBB3_172:                              ;   in Loop: Header=BB3_79 Depth=1
	s_or_b64 exec, exec, s[6:7]
	v_and_b32_e32 v20, 0x7f800000, v21
	v_cmp_ne_u32_e32 vcc, s70, v20
                                        ; implicit-def: $vgpr20
	s_and_saveexec_b64 s[6:7], vcc
	s_xor_b64 s[6:7], exec, s[6:7]
; %bb.173:                              ;   in Loop: Header=BB3_79 Depth=1
	v_bfe_u32 v20, v21, 16, 1
	v_add3_u32 v20, v21, v20, s71
                                        ; implicit-def: $vgpr21
; %bb.174:                              ;   in Loop: Header=BB3_79 Depth=1
	s_andn2_saveexec_b64 s[6:7], s[6:7]
; %bb.175:                              ;   in Loop: Header=BB3_79 Depth=1
	v_or_b32_e32 v20, 0x10000, v21
	v_cmp_eq_u32_sdwa vcc, v21, v79 src0_sel:WORD_0 src1_sel:DWORD
	v_cndmask_b32_e32 v20, v20, v21, vcc
; %bb.176:                              ;   in Loop: Header=BB3_79 Depth=1
	s_or_b64 exec, exec, s[6:7]
	ds_write_b16_d16_hi v73, v20 offset:32
	v_mov_b32_e32 v20, 0
	v_mov_b32_e32 v86, 0
	s_and_saveexec_b64 s[6:7], s[18:19]
	s_cbranch_execz .LBB3_178
; %bb.177:                              ;   in Loop: Header=BB3_79 Depth=1
	ds_read_b32 v86, v80 offset:8
.LBB3_178:                              ;   in Loop: Header=BB3_79 Depth=1
	s_or_b64 exec, exec, s[6:7]
	s_or_b64 s[6:7], s[26:27], s[16:17]
	s_xor_b64 s[26:27], s[6:7], -1
	s_and_saveexec_b64 s[6:7], s[26:27]
	s_cbranch_execz .LBB3_180
; %bb.179:                              ;   in Loop: Header=BB3_79 Depth=1
	ds_read_b32 v20, v69 offset:8
	s_waitcnt lgkmcnt(0)
	v_mul_f32_e32 v20, v19, v20
.LBB3_180:                              ;   in Loop: Header=BB3_79 Depth=1
	s_or_b64 exec, exec, s[6:7]
	v_and_b32_e32 v19, 0x7f800000, v20
	v_cmp_ne_u32_e32 vcc, s70, v19
                                        ; implicit-def: $vgpr19
	s_and_saveexec_b64 s[6:7], vcc
	s_xor_b64 s[6:7], exec, s[6:7]
; %bb.181:                              ;   in Loop: Header=BB3_79 Depth=1
	v_bfe_u32 v19, v20, 16, 1
	v_add3_u32 v19, v20, v19, s71
                                        ; implicit-def: $vgpr20
; %bb.182:                              ;   in Loop: Header=BB3_79 Depth=1
	s_andn2_saveexec_b64 s[6:7], s[6:7]
; %bb.183:                              ;   in Loop: Header=BB3_79 Depth=1
	v_or_b32_e32 v19, 0x10000, v20
	v_cmp_eq_u32_sdwa vcc, v20, v79 src0_sel:WORD_0 src1_sel:DWORD
	v_cndmask_b32_e32 v19, v19, v20, vcc
; %bb.184:                              ;   in Loop: Header=BB3_79 Depth=1
	s_or_b64 exec, exec, s[6:7]
	ds_write_b16_d16_hi v73, v19 offset:64
	v_mov_b32_e32 v19, 0
	v_mov_b32_e32 v87, 0
	s_and_saveexec_b64 s[6:7], s[22:23]
	s_cbranch_execnz .LBB3_187
; %bb.185:                              ;   in Loop: Header=BB3_79 Depth=1
	s_or_b64 exec, exec, s[6:7]
	s_and_saveexec_b64 s[6:7], s[4:5]
	s_cbranch_execnz .LBB3_188
.LBB3_186:                              ;   in Loop: Header=BB3_79 Depth=1
	s_or_b64 exec, exec, s[6:7]
	s_and_saveexec_b64 s[4:5], s[24:25]
	s_cbranch_execnz .LBB3_189
	s_branch .LBB3_194
.LBB3_187:                              ;   in Loop: Header=BB3_79 Depth=1
	ds_read_b32 v87, v71
	s_or_b64 exec, exec, s[6:7]
	s_and_saveexec_b64 s[6:7], s[4:5]
	s_cbranch_execz .LBB3_186
.LBB3_188:                              ;   in Loop: Header=BB3_79 Depth=1
	ds_read_b32 v19, v70
	s_waitcnt lgkmcnt(0)
	v_mul_f32_e32 v19, v18, v19
	s_or_b64 exec, exec, s[6:7]
	s_and_saveexec_b64 s[4:5], s[24:25]
	s_cbranch_execz .LBB3_194
.LBB3_189:                              ;   in Loop: Header=BB3_79 Depth=1
	v_and_b32_e32 v18, 0x7f800000, v19
	v_cmp_ne_u32_e32 vcc, s70, v18
                                        ; implicit-def: $vgpr18
	s_and_saveexec_b64 s[6:7], vcc
	s_xor_b64 s[6:7], exec, s[6:7]
; %bb.190:                              ;   in Loop: Header=BB3_79 Depth=1
	v_bfe_u32 v18, v19, 16, 1
	v_add3_u32 v18, v19, v18, s71
                                        ; implicit-def: $vgpr19
; %bb.191:                              ;   in Loop: Header=BB3_79 Depth=1
	s_andn2_saveexec_b64 s[6:7], s[6:7]
; %bb.192:                              ;   in Loop: Header=BB3_79 Depth=1
	v_or_b32_e32 v18, 0x10000, v19
	v_cmp_eq_u32_sdwa vcc, v19, v79 src0_sel:WORD_0 src1_sel:DWORD
	v_cndmask_b32_e32 v18, v18, v19, vcc
; %bb.193:                              ;   in Loop: Header=BB3_79 Depth=1
	s_or_b64 exec, exec, s[6:7]
	ds_write_b16_d16_hi v74, v18
.LBB3_194:                              ;   in Loop: Header=BB3_79 Depth=1
	s_or_b64 exec, exec, s[4:5]
	s_mov_b32 s45, s44
	v_pk_mov_b32 v[18:19], s[44:45], s[44:45] op_sel:[0,1]
	s_waitcnt lgkmcnt(0)
	s_barrier
	s_and_saveexec_b64 s[4:5], s[2:3]
	s_cbranch_execz .LBB3_201
; %bb.195:                              ;   in Loop: Header=BB3_79 Depth=1
	v_cmp_gt_i32_e32 vcc, s78, v39
	v_pk_mov_b32 v[18:19], s[44:45], s[44:45] op_sel:[0,1]
	s_and_saveexec_b64 s[6:7], vcc
	s_cbranch_execnz .LBB3_233
; %bb.196:                              ;   in Loop: Header=BB3_79 Depth=1
	s_or_b64 exec, exec, s[6:7]
	v_cmp_gt_i32_e32 vcc, s79, v44
	s_and_saveexec_b64 s[6:7], vcc
	s_cbranch_execnz .LBB3_234
.LBB3_197:                              ;   in Loop: Header=BB3_79 Depth=1
	s_or_b64 exec, exec, s[6:7]
	v_cmp_gt_i32_e32 vcc, s79, v43
	s_and_saveexec_b64 s[6:7], vcc
	s_cbranch_execnz .LBB3_235
.LBB3_198:                              ;   in Loop: Header=BB3_79 Depth=1
	s_or_b64 exec, exec, s[6:7]
	v_cmp_gt_i32_e32 vcc, s79, v42
	s_and_saveexec_b64 s[6:7], vcc
	s_cbranch_execz .LBB3_200
.LBB3_199:                              ;   in Loop: Header=BB3_79 Depth=1
	ds_read_u16 v20, v76
	s_waitcnt lgkmcnt(0)
	v_perm_b32 v19, v20, v19, s74
.LBB3_200:                              ;   in Loop: Header=BB3_79 Depth=1
	s_or_b64 exec, exec, s[6:7]
.LBB3_201:                              ;   in Loop: Header=BB3_79 Depth=1
	s_or_b64 exec, exec, s[4:5]
	s_mov_b32 s45, s44
	v_cmp_gt_i32_e32 vcc, s78, v39
	v_pk_mov_b32 v[20:21], s[44:45], s[44:45] op_sel:[0,1]
	s_and_saveexec_b64 s[4:5], vcc
	s_cbranch_execnz .LBB3_220
; %bb.202:                              ;   in Loop: Header=BB3_79 Depth=1
	s_or_b64 exec, exec, s[4:5]
	v_cmp_gt_i32_e64 s[4:5], s79, v44
	s_and_saveexec_b64 s[6:7], s[4:5]
	s_cbranch_execnz .LBB3_221
.LBB3_203:                              ;   in Loop: Header=BB3_79 Depth=1
	s_or_b64 exec, exec, s[6:7]
	v_cmp_gt_i32_e64 s[6:7], s79, v43
	s_and_saveexec_b64 s[26:27], s[6:7]
	s_cbranch_execnz .LBB3_222
.LBB3_204:                              ;   in Loop: Header=BB3_79 Depth=1
	s_or_b64 exec, exec, s[26:27]
	v_cmp_gt_i32_e64 s[26:27], s79, v42
	s_and_saveexec_b64 s[34:35], s[26:27]
	s_cbranch_execz .LBB3_206
.LBB3_205:                              ;   in Loop: Header=BB3_79 Depth=1
	ds_read_u16 v30, v49
	s_waitcnt lgkmcnt(0)
	v_perm_b32 v21, v30, v21, s74
.LBB3_206:                              ;   in Loop: Header=BB3_79 Depth=1
	s_or_b64 exec, exec, s[34:35]
	s_mov_b32 s45, s44
	v_pk_mov_b32 v[32:33], s[44:45], s[44:45] op_sel:[0,1]
	s_and_saveexec_b64 s[34:35], vcc
	s_cbranch_execnz .LBB3_223
; %bb.207:                              ;   in Loop: Header=BB3_79 Depth=1
	s_or_b64 exec, exec, s[34:35]
	s_and_saveexec_b64 s[34:35], s[4:5]
	s_cbranch_execnz .LBB3_224
.LBB3_208:                              ;   in Loop: Header=BB3_79 Depth=1
	s_or_b64 exec, exec, s[34:35]
	s_and_saveexec_b64 s[34:35], s[6:7]
	s_cbranch_execnz .LBB3_225
.LBB3_209:                              ;   in Loop: Header=BB3_79 Depth=1
	s_or_b64 exec, exec, s[34:35]
	s_and_saveexec_b64 s[34:35], s[26:27]
	s_cbranch_execz .LBB3_211
.LBB3_210:                              ;   in Loop: Header=BB3_79 Depth=1
	ds_read_u16 v30, v49 offset:512
	s_waitcnt lgkmcnt(0)
	v_perm_b32 v33, v30, v33, s74
.LBB3_211:                              ;   in Loop: Header=BB3_79 Depth=1
	s_or_b64 exec, exec, s[34:35]
	s_mov_b32 s45, s44
	v_pk_mov_b32 v[34:35], s[44:45], s[44:45] op_sel:[0,1]
	s_and_saveexec_b64 s[34:35], vcc
	s_cbranch_execnz .LBB3_226
; %bb.212:                              ;   in Loop: Header=BB3_79 Depth=1
	s_or_b64 exec, exec, s[34:35]
	s_and_saveexec_b64 s[34:35], s[4:5]
	s_cbranch_execnz .LBB3_227
.LBB3_213:                              ;   in Loop: Header=BB3_79 Depth=1
	s_or_b64 exec, exec, s[34:35]
	s_and_saveexec_b64 s[34:35], s[6:7]
	s_cbranch_execnz .LBB3_228
.LBB3_214:                              ;   in Loop: Header=BB3_79 Depth=1
	s_or_b64 exec, exec, s[34:35]
	s_and_saveexec_b64 s[34:35], s[26:27]
	s_cbranch_execz .LBB3_216
.LBB3_215:                              ;   in Loop: Header=BB3_79 Depth=1
	ds_read_u16 v30, v49 offset:1024
	s_waitcnt lgkmcnt(0)
	v_perm_b32 v35, v30, v35, s74
.LBB3_216:                              ;   in Loop: Header=BB3_79 Depth=1
	s_or_b64 exec, exec, s[34:35]
	s_mov_b32 s45, s44
	v_pk_mov_b32 v[36:37], s[44:45], s[44:45] op_sel:[0,1]
	s_and_saveexec_b64 s[34:35], vcc
	s_cbranch_execnz .LBB3_229
; %bb.217:                              ;   in Loop: Header=BB3_79 Depth=1
	s_or_b64 exec, exec, s[34:35]
	s_and_saveexec_b64 s[34:35], s[4:5]
	s_cbranch_execnz .LBB3_230
.LBB3_218:                              ;   in Loop: Header=BB3_79 Depth=1
	s_or_b64 exec, exec, s[34:35]
	s_and_saveexec_b64 s[4:5], s[6:7]
	s_cbranch_execnz .LBB3_231
.LBB3_219:                              ;   in Loop: Header=BB3_79 Depth=1
	s_or_b64 exec, exec, s[4:5]
	s_and_saveexec_b64 s[4:5], s[26:27]
	s_cbranch_execz .LBB3_78
	s_branch .LBB3_232
.LBB3_220:                              ;   in Loop: Header=BB3_79 Depth=1
	ds_read_u16 v20, v48
	s_waitcnt lgkmcnt(0)
	v_and_b32_e32 v30, 0xffff, v20
	v_pk_mov_b32 v[20:21], v[30:31], v[30:31] op_sel:[0,1]
	s_or_b64 exec, exec, s[4:5]
	v_cmp_gt_i32_e64 s[4:5], s79, v44
	s_and_saveexec_b64 s[6:7], s[4:5]
	s_cbranch_execz .LBB3_203
.LBB3_221:                              ;   in Loop: Header=BB3_79 Depth=1
	ds_read_u16 v30, v48 offset:2
	s_waitcnt lgkmcnt(0)
	v_perm_b32 v20, v30, v20, s74
	s_or_b64 exec, exec, s[6:7]
	v_cmp_gt_i32_e64 s[6:7], s79, v43
	s_and_saveexec_b64 s[26:27], s[6:7]
	s_cbranch_execz .LBB3_204
.LBB3_222:                              ;   in Loop: Header=BB3_79 Depth=1
	ds_read_u16 v30, v48 offset:4
	s_waitcnt lgkmcnt(0)
	v_bfi_b32 v21, s72, v30, v21
	s_or_b64 exec, exec, s[26:27]
	v_cmp_gt_i32_e64 s[26:27], s79, v42
	s_and_saveexec_b64 s[34:35], s[26:27]
	s_cbranch_execnz .LBB3_205
	s_branch .LBB3_206
.LBB3_223:                              ;   in Loop: Header=BB3_79 Depth=1
	ds_read_u16 v30, v48 offset:512
	s_waitcnt lgkmcnt(0)
	v_and_b32_e32 v30, 0xffff, v30
	v_pk_mov_b32 v[32:33], v[30:31], v[30:31] op_sel:[0,1]
	s_or_b64 exec, exec, s[34:35]
	s_and_saveexec_b64 s[34:35], s[4:5]
	s_cbranch_execz .LBB3_208
.LBB3_224:                              ;   in Loop: Header=BB3_79 Depth=1
	ds_read_u16 v30, v48 offset:514
	s_waitcnt lgkmcnt(0)
	v_perm_b32 v32, v30, v32, s74
	s_or_b64 exec, exec, s[34:35]
	s_and_saveexec_b64 s[34:35], s[6:7]
	s_cbranch_execz .LBB3_209
.LBB3_225:                              ;   in Loop: Header=BB3_79 Depth=1
	ds_read_u16 v30, v48 offset:516
	s_waitcnt lgkmcnt(0)
	v_bfi_b32 v33, s72, v30, v33
	s_or_b64 exec, exec, s[34:35]
	s_and_saveexec_b64 s[34:35], s[26:27]
	s_cbranch_execnz .LBB3_210
	s_branch .LBB3_211
.LBB3_226:                              ;   in Loop: Header=BB3_79 Depth=1
	ds_read_u16 v30, v48 offset:1024
	s_waitcnt lgkmcnt(0)
	v_and_b32_e32 v30, 0xffff, v30
	v_pk_mov_b32 v[34:35], v[30:31], v[30:31] op_sel:[0,1]
	s_or_b64 exec, exec, s[34:35]
	s_and_saveexec_b64 s[34:35], s[4:5]
	s_cbranch_execz .LBB3_213
.LBB3_227:                              ;   in Loop: Header=BB3_79 Depth=1
	ds_read_u16 v30, v48 offset:1026
	s_waitcnt lgkmcnt(0)
	v_perm_b32 v34, v30, v34, s74
	s_or_b64 exec, exec, s[34:35]
	s_and_saveexec_b64 s[34:35], s[6:7]
	s_cbranch_execz .LBB3_214
.LBB3_228:                              ;   in Loop: Header=BB3_79 Depth=1
	ds_read_u16 v30, v48 offset:1028
	s_waitcnt lgkmcnt(0)
	v_bfi_b32 v35, s72, v30, v35
	s_or_b64 exec, exec, s[34:35]
	s_and_saveexec_b64 s[34:35], s[26:27]
	s_cbranch_execnz .LBB3_215
	s_branch .LBB3_216
.LBB3_229:                              ;   in Loop: Header=BB3_79 Depth=1
	ds_read_u16 v30, v50
	s_waitcnt lgkmcnt(0)
	v_and_b32_e32 v30, 0xffff, v30
	v_pk_mov_b32 v[36:37], v[30:31], v[30:31] op_sel:[0,1]
	s_or_b64 exec, exec, s[34:35]
	s_and_saveexec_b64 s[34:35], s[4:5]
	s_cbranch_execz .LBB3_218
.LBB3_230:                              ;   in Loop: Header=BB3_79 Depth=1
	ds_read_u16 v30, v50 offset:2
	s_waitcnt lgkmcnt(0)
	v_perm_b32 v36, v30, v36, s74
	s_or_b64 exec, exec, s[34:35]
	s_and_saveexec_b64 s[4:5], s[6:7]
	s_cbranch_execz .LBB3_219
.LBB3_231:                              ;   in Loop: Header=BB3_79 Depth=1
	ds_read_u16 v30, v50 offset:4
	s_waitcnt lgkmcnt(0)
	v_bfi_b32 v37, s72, v30, v37
	s_or_b64 exec, exec, s[4:5]
	s_and_saveexec_b64 s[4:5], s[26:27]
	s_cbranch_execz .LBB3_78
.LBB3_232:                              ;   in Loop: Header=BB3_79 Depth=1
	ds_read_u16 v30, v51
	s_waitcnt lgkmcnt(0)
	v_perm_b32 v37, v30, v37, s74
	s_branch .LBB3_78
.LBB3_233:                              ;   in Loop: Header=BB3_79 Depth=1
	ds_read_u16 v18, v75
	s_waitcnt lgkmcnt(0)
	v_and_b32_e32 v30, 0xffff, v18
	v_pk_mov_b32 v[18:19], v[30:31], v[30:31] op_sel:[0,1]
	s_or_b64 exec, exec, s[6:7]
	v_cmp_gt_i32_e32 vcc, s79, v44
	s_and_saveexec_b64 s[6:7], vcc
	s_cbranch_execz .LBB3_197
.LBB3_234:                              ;   in Loop: Header=BB3_79 Depth=1
	ds_read_u16 v20, v75 offset:2
	s_waitcnt lgkmcnt(0)
	v_perm_b32 v18, v20, v18, s74
	s_or_b64 exec, exec, s[6:7]
	v_cmp_gt_i32_e32 vcc, s79, v43
	s_and_saveexec_b64 s[6:7], vcc
	s_cbranch_execz .LBB3_198
.LBB3_235:                              ;   in Loop: Header=BB3_79 Depth=1
	ds_read_u16 v20, v75 offset:4
	s_waitcnt lgkmcnt(0)
	v_bfi_b32 v19, s72, v20, v19
	s_or_b64 exec, exec, s[6:7]
	v_cmp_gt_i32_e32 vcc, s79, v42
	s_and_saveexec_b64 s[6:7], vcc
	s_cbranch_execnz .LBB3_199
	s_branch .LBB3_200
.LBB3_236:                              ;   in Loop: Header=BB3_79 Depth=1
                                        ; implicit-def: $vgpr19
.LBB3_237:                              ;   in Loop: Header=BB3_79 Depth=1
	v_and_b32_e32 v19, s64, v18
.LBB3_238:                              ;   in Loop: Header=BB3_79 Depth=1
	v_mov_b32_e32 v18, v19
.LBB3_239:                              ;   in Loop: Header=BB3_79 Depth=1
	s_and_b64 s[34:35], s[0:1], exec
	s_andn2_saveexec_b64 s[6:7], s[6:7]
	s_cbranch_execz .LBB3_81
.LBB3_240:                              ;   in Loop: Header=BB3_79 Depth=1
	s_andn2_b64 s[34:35], s[34:35], exec
	s_and_b64 s[36:37], s[0:1], exec
	v_mov_b32_e32 v18, 0
	s_or_b64 s[34:35], s[34:35], s[36:37]
	s_or_b64 exec, exec, s[6:7]
	s_and_saveexec_b64 s[6:7], s[34:35]
	s_cbranch_execnz .LBB3_82
	s_branch .LBB3_83
.LBB3_241:
	s_cmp_lg_u64 s[40:41], 0
	s_cbranch_scc0 .LBB3_283
; %bb.242:
	v_cmp_eq_u32_e32 vcc, 0, v38
	s_and_saveexec_b64 s[0:1], vcc
	s_cbranch_execz .LBB3_280
; %bb.243:
	v_cmp_le_u32_e32 vcc, s39, v39
	s_and_saveexec_b64 s[2:3], vcc
	s_xor_b64 s[2:3], exec, s[2:3]
	s_cbranch_execz .LBB3_245
; %bb.244:
	v_mov_b32_e32 v1, 1.0
	ds_write_b32 v41, v1 offset:4928
.LBB3_245:
	s_andn2_saveexec_b64 s[2:3], s[2:3]
	s_cbranch_execz .LBB3_251
; %bb.246:
	v_add_u32_e32 v18, s33, v39
	v_ashrrev_i32_e32 v19, 31, v18
	v_lshlrev_b64 v[18:19], 1, v[18:19]
	v_mov_b32_e32 v1, s41
	v_add_co_u32_e32 v18, vcc, s40, v18
	v_addc_co_u32_e32 v19, vcc, v1, v19, vcc
	global_load_ushort v1, v[18:19], off
	s_movk_i32 s4, 0x1f8
	s_waitcnt vmcnt(0)
	v_lshlrev_b32_e32 v1, 16, v1
	v_cmp_class_f32_e64 s[4:5], v1, s4
	s_and_saveexec_b64 s[6:7], s[4:5]
	s_xor_b64 s[4:5], exec, s[6:7]
	s_cbranch_execz .LBB3_248
; %bb.247:
	v_add_u32_e32 v20, 0x1000, v41
	ds_read2_b32 v[18:19], v20 offset0:144 offset1:160
	v_max_f32_e32 v21, v1, v1
	s_mov_b32 s6, 0xff800000
	s_waitcnt lgkmcnt(0)
	v_max_f32_e32 v22, v19, v19
	v_max_f32_e32 v21, v22, v21
	v_sub_f32_e32 v22, v19, v21
	v_sub_f32_e32 v1, v1, v21
	v_mul_f32_e32 v22, 0x3fb8aa3b, v22
	v_exp_f32_e32 v22, v22
	v_mul_f32_e32 v1, 0x3fb8aa3b, v1
	v_exp_f32_e32 v1, v1
	v_cmp_neq_f32_e32 vcc, s6, v19
	v_cndmask_b32_e32 v19, 0, v22, vcc
	v_mul_f32_e32 v22, v18, v19
	v_fmac_f32_e32 v1, v18, v19
	v_div_scale_f32 v18, s[6:7], v1, v1, v22
	v_rcp_f32_e32 v19, v18
	v_div_scale_f32 v23, vcc, v22, v1, v22
	v_fma_f32 v24, -v18, v19, 1.0
	v_fmac_f32_e32 v19, v24, v19
	v_mul_f32_e32 v24, v23, v19
	v_fma_f32 v25, -v18, v24, v23
	v_fmac_f32_e32 v24, v25, v19
	v_fma_f32 v18, -v18, v24, v23
	v_div_fmas_f32 v18, v18, v19, v24
	v_div_fixup_f32 v18, v18, v1, v22
	v_cmp_lt_f32_e32 vcc, 0, v1
	v_cndmask_b32_e32 v18, 1.0, v18, vcc
	ds_write_b32 v41, v18 offset:4928
	ds_write2_b32 v20, v1, v21 offset0:144 offset1:160
.LBB3_248:
	s_andn2_saveexec_b64 s[4:5], s[4:5]
	s_cbranch_execz .LBB3_250
; %bb.249:
	v_mov_b32_e32 v1, 1.0
	ds_write_b32 v41, v1 offset:4928
.LBB3_250:
	s_or_b64 exec, exec, s[4:5]
.LBB3_251:
	s_or_b64 exec, exec, s[2:3]
	v_or_b32_e32 v1, 1, v40
	v_cmp_le_u32_e32 vcc, s60, v1
	s_and_saveexec_b64 s[2:3], vcc
	s_xor_b64 s[2:3], exec, s[2:3]
	s_cbranch_execz .LBB3_255
; %bb.252:
	v_cmp_gt_u32_e32 vcc, 64, v0
	s_and_saveexec_b64 s[4:5], vcc
	s_cbranch_execz .LBB3_254
; %bb.253:
	v_lshlrev_b32_e32 v1, 2, v40
	v_mov_b32_e32 v18, 1.0
	ds_write_b32 v1, v18 offset:4932
.LBB3_254:
	s_or_b64 exec, exec, s[4:5]
.LBB3_255:
	s_andn2_saveexec_b64 s[2:3], s[2:3]
	s_cbranch_execz .LBB3_261
; %bb.256:
	s_ashr_i32 s4, s33, 31
	v_mov_b32_e32 v1, s4
	v_add_co_u32_e32 v18, vcc, s33, v40
	v_addc_co_u32_e32 v19, vcc, 0, v1, vcc
	v_lshlrev_b64 v[18:19], 1, v[18:19]
	v_mov_b32_e32 v1, s41
	v_add_co_u32_e32 v18, vcc, s40, v18
	v_addc_co_u32_e32 v19, vcc, v1, v19, vcc
	global_load_ushort v1, v[18:19], off offset:2
	s_movk_i32 s4, 0x1f8
	s_waitcnt vmcnt(0)
	v_lshlrev_b32_e32 v1, 16, v1
	v_cmp_class_f32_e64 s[4:5], v1, s4
	s_and_saveexec_b64 s[6:7], s[4:5]
	s_xor_b64 s[4:5], exec, s[6:7]
	s_cbranch_execz .LBB3_258
; %bb.257:
	v_lshlrev_b32_e32 v20, 2, v40
	v_add_u32_e32 v21, 0x1000, v20
	ds_read2_b32 v[18:19], v21 offset0:145 offset1:161
	v_max_f32_e32 v22, v1, v1
	s_mov_b32 s6, 0xff800000
	s_waitcnt lgkmcnt(0)
	v_max_f32_e32 v23, v19, v19
	v_max_f32_e32 v22, v23, v22
	v_sub_f32_e32 v23, v19, v22
	v_sub_f32_e32 v1, v1, v22
	v_mul_f32_e32 v23, 0x3fb8aa3b, v23
	v_exp_f32_e32 v23, v23
	v_mul_f32_e32 v1, 0x3fb8aa3b, v1
	v_exp_f32_e32 v1, v1
	v_cmp_neq_f32_e32 vcc, s6, v19
	v_cndmask_b32_e32 v19, 0, v23, vcc
	v_mul_f32_e32 v23, v18, v19
	v_fmac_f32_e32 v1, v18, v19
	v_div_scale_f32 v18, s[6:7], v1, v1, v23
	v_rcp_f32_e32 v19, v18
	v_div_scale_f32 v24, vcc, v23, v1, v23
	v_fma_f32 v25, -v18, v19, 1.0
	v_fmac_f32_e32 v19, v25, v19
	v_mul_f32_e32 v25, v24, v19
	v_fma_f32 v26, -v18, v25, v24
	v_fmac_f32_e32 v25, v26, v19
	v_fma_f32 v18, -v18, v25, v24
	v_div_fmas_f32 v18, v18, v19, v25
	v_div_fixup_f32 v18, v18, v1, v23
	v_cmp_lt_f32_e32 vcc, 0, v1
	v_cndmask_b32_e32 v18, 1.0, v18, vcc
	ds_write_b32 v20, v18 offset:4932
	ds_write2_b32 v21, v1, v22 offset0:145 offset1:161
.LBB3_258:
	s_andn2_saveexec_b64 s[4:5], s[4:5]
	s_cbranch_execz .LBB3_260
; %bb.259:
	v_lshlrev_b32_e32 v1, 2, v40
	v_mov_b32_e32 v18, 1.0
	ds_write_b32 v1, v18 offset:4932
.LBB3_260:
	s_or_b64 exec, exec, s[4:5]
.LBB3_261:
	s_or_b64 exec, exec, s[2:3]
	v_or_b32_e32 v1, 2, v40
	v_cmp_le_u32_e32 vcc, s60, v1
	s_and_saveexec_b64 s[2:3], vcc
	s_xor_b64 s[2:3], exec, s[2:3]
	s_cbranch_execz .LBB3_265
; %bb.262:
	v_cmp_gt_u32_e32 vcc, 64, v0
	s_and_saveexec_b64 s[4:5], vcc
	s_cbranch_execz .LBB3_264
; %bb.263:
	v_lshlrev_b32_e32 v1, 2, v40
	v_mov_b32_e32 v18, 1.0
	ds_write_b32 v1, v18 offset:4936
.LBB3_264:
	s_or_b64 exec, exec, s[4:5]
.LBB3_265:
	s_andn2_saveexec_b64 s[2:3], s[2:3]
	s_cbranch_execz .LBB3_271
; %bb.266:
	s_ashr_i32 s4, s33, 31
	v_mov_b32_e32 v1, s4
	v_add_co_u32_e32 v18, vcc, s33, v40
	v_addc_co_u32_e32 v19, vcc, 0, v1, vcc
	v_lshlrev_b64 v[18:19], 1, v[18:19]
	v_mov_b32_e32 v1, s41
	v_add_co_u32_e32 v18, vcc, s40, v18
	v_addc_co_u32_e32 v19, vcc, v1, v19, vcc
	global_load_ushort v1, v[18:19], off offset:4
	s_movk_i32 s4, 0x1f8
	s_waitcnt vmcnt(0)
	v_lshlrev_b32_e32 v1, 16, v1
	v_cmp_class_f32_e64 s[4:5], v1, s4
	s_and_saveexec_b64 s[6:7], s[4:5]
	s_xor_b64 s[4:5], exec, s[6:7]
	s_cbranch_execz .LBB3_268
; %bb.267:
	v_lshlrev_b32_e32 v20, 2, v40
	v_add_u32_e32 v21, 0x1000, v20
	ds_read2_b32 v[18:19], v21 offset0:146 offset1:162
	v_max_f32_e32 v22, v1, v1
	s_mov_b32 s6, 0xff800000
	s_waitcnt lgkmcnt(0)
	v_max_f32_e32 v23, v19, v19
	v_max_f32_e32 v22, v23, v22
	v_sub_f32_e32 v23, v19, v22
	v_sub_f32_e32 v1, v1, v22
	v_mul_f32_e32 v23, 0x3fb8aa3b, v23
	v_exp_f32_e32 v23, v23
	v_mul_f32_e32 v1, 0x3fb8aa3b, v1
	v_exp_f32_e32 v1, v1
	v_cmp_neq_f32_e32 vcc, s6, v19
	v_cndmask_b32_e32 v19, 0, v23, vcc
	v_mul_f32_e32 v23, v18, v19
	v_fmac_f32_e32 v1, v18, v19
	v_div_scale_f32 v18, s[6:7], v1, v1, v23
	v_rcp_f32_e32 v19, v18
	v_div_scale_f32 v24, vcc, v23, v1, v23
	v_fma_f32 v25, -v18, v19, 1.0
	v_fmac_f32_e32 v19, v25, v19
	v_mul_f32_e32 v25, v24, v19
	v_fma_f32 v26, -v18, v25, v24
	v_fmac_f32_e32 v25, v26, v19
	v_fma_f32 v18, -v18, v25, v24
	v_div_fmas_f32 v18, v18, v19, v25
	v_div_fixup_f32 v18, v18, v1, v23
	v_cmp_lt_f32_e32 vcc, 0, v1
	v_cndmask_b32_e32 v18, 1.0, v18, vcc
	ds_write_b32 v20, v18 offset:4936
	ds_write2_b32 v21, v1, v22 offset0:146 offset1:162
.LBB3_268:
	s_andn2_saveexec_b64 s[4:5], s[4:5]
	s_cbranch_execz .LBB3_270
; %bb.269:
	v_lshlrev_b32_e32 v1, 2, v40
	v_mov_b32_e32 v18, 1.0
	ds_write_b32 v1, v18 offset:4936
.LBB3_270:
	s_or_b64 exec, exec, s[4:5]
.LBB3_271:
	s_or_b64 exec, exec, s[2:3]
	v_cmp_le_u32_e32 vcc, s60, v42
	s_and_saveexec_b64 s[2:3], vcc
	s_xor_b64 s[2:3], exec, s[2:3]
	s_cbranch_execz .LBB3_275
; %bb.272:
	v_cmp_gt_u32_e32 vcc, 64, v0
	s_and_saveexec_b64 s[4:5], vcc
	s_cbranch_execz .LBB3_274
; %bb.273:
	v_lshlrev_b32_e32 v1, 2, v40
	v_mov_b32_e32 v18, 1.0
	ds_write_b32 v1, v18 offset:4940
.LBB3_274:
	s_or_b64 exec, exec, s[4:5]
.LBB3_275:
	s_andn2_saveexec_b64 s[2:3], s[2:3]
	s_cbranch_execz .LBB3_280
; %bb.276:
	s_ashr_i32 s2, s33, 31
	v_mov_b32_e32 v1, s2
	v_add_co_u32_e32 v18, vcc, s33, v40
	v_addc_co_u32_e32 v19, vcc, 0, v1, vcc
	v_lshlrev_b64 v[18:19], 1, v[18:19]
	v_mov_b32_e32 v1, s41
	v_add_co_u32_e32 v18, vcc, s40, v18
	v_addc_co_u32_e32 v19, vcc, v1, v19, vcc
	global_load_ushort v1, v[18:19], off offset:6
	s_movk_i32 s2, 0x1f8
	s_waitcnt vmcnt(0)
	v_lshlrev_b32_e32 v18, 16, v1
	v_cmp_class_f32_e64 s[2:3], v18, s2
	v_lshlrev_b32_e32 v1, 2, v40
	s_and_saveexec_b64 s[4:5], s[2:3]
	s_xor_b64 s[2:3], exec, s[4:5]
	s_cbranch_execz .LBB3_278
; %bb.277:
	v_add_u32_e32 v19, 0x1000, v1
	ds_read2_b32 v[20:21], v19 offset0:147 offset1:163
	v_max_f32_e32 v22, v18, v18
	s_mov_b32 s4, 0xff800000
	s_waitcnt lgkmcnt(0)
	v_max_f32_e32 v23, v21, v21
	v_max_f32_e32 v22, v23, v22
	v_sub_f32_e32 v23, v21, v22
	v_sub_f32_e32 v18, v18, v22
	v_mul_f32_e32 v23, 0x3fb8aa3b, v23
	v_exp_f32_e32 v23, v23
	v_mul_f32_e32 v18, 0x3fb8aa3b, v18
	v_exp_f32_e32 v18, v18
	v_cmp_neq_f32_e32 vcc, s4, v21
	v_cndmask_b32_e32 v21, 0, v23, vcc
	v_mul_f32_e32 v23, v20, v21
	v_fmac_f32_e32 v18, v20, v21
	v_div_scale_f32 v20, s[4:5], v18, v18, v23
	v_rcp_f32_e32 v21, v20
	v_div_scale_f32 v24, vcc, v23, v18, v23
	v_fma_f32 v25, -v20, v21, 1.0
	v_fmac_f32_e32 v21, v25, v21
	v_mul_f32_e32 v25, v24, v21
	v_fma_f32 v26, -v20, v25, v24
	v_fmac_f32_e32 v25, v26, v21
	v_fma_f32 v20, -v20, v25, v24
	v_div_fmas_f32 v20, v20, v21, v25
	v_div_fixup_f32 v20, v20, v18, v23
	v_cmp_lt_f32_e32 vcc, 0, v18
	v_cndmask_b32_e32 v20, 1.0, v20, vcc
	ds_write_b32 v1, v20 offset:4940
	ds_write2_b32 v19, v18, v22 offset0:147 offset1:163
                                        ; implicit-def: $vgpr1
.LBB3_278:
	s_andn2_saveexec_b64 s[2:3], s[2:3]
	s_cbranch_execz .LBB3_280
; %bb.279:
	v_mov_b32_e32 v18, 1.0
	ds_write_b32 v1, v18 offset:4940
.LBB3_280:
	s_or_b64 exec, exec, s[0:1]
	s_waitcnt lgkmcnt(0)
	s_barrier
	ds_read_b96 v[18:20], v41 offset:4928
	v_cmp_gt_u32_e32 vcc, 64, v0
	v_mov_b32_e32 v1, 1.0
	s_and_saveexec_b64 s[0:1], vcc
	s_cbranch_execz .LBB3_282
; %bb.281:
	v_lshl_or_b32 v1, v40, 2, 12
	ds_read_b32 v1, v1 offset:4928
.LBB3_282:
	s_or_b64 exec, exec, s[0:1]
	s_waitcnt lgkmcnt(0)
	v_pk_mul_f32 v[14:15], v[14:15], v[18:19]
	v_pk_mul_f32 v[10:11], v[10:11], v[18:19]
	;; [unrolled: 1-line block ×4, first 2 shown]
	v_mul_f32_e32 v12, v12, v20
	v_mul_f32_e32 v4, v4, v20
	;; [unrolled: 1-line block ×8, first 2 shown]
.LBB3_283:
	s_lshl_b64 s[0:1], s[48:49], 2
	s_add_u32 s2, s42, s0
	v_or_b32_e32 v0, 48, v0
	s_addc_u32 s3, s43, s1
	v_cmp_gt_u32_e32 vcc, s39, v39
	v_lshlrev_b32_e32 v1, 2, v38
	v_lshlrev_b32_e32 v0, 2, v0
	s_and_saveexec_b64 s[0:1], vcc
	s_cbranch_execnz .LBB3_289
; %bb.284:
	s_or_b64 exec, exec, s[0:1]
	v_cmp_gt_u32_e32 vcc, s60, v44
	s_and_saveexec_b64 s[0:1], vcc
	s_cbranch_execnz .LBB3_290
.LBB3_285:
	s_or_b64 exec, exec, s[0:1]
	v_cmp_gt_u32_e32 vcc, s60, v43
	s_and_saveexec_b64 s[0:1], vcc
	s_cbranch_execnz .LBB3_291
.LBB3_286:
	s_or_b64 exec, exec, s[0:1]
	v_cmp_gt_u32_e32 vcc, s60, v42
	s_and_b64 exec, exec, vcc
	s_cbranch_execz .LBB3_288
.LBB3_287:
	v_add_u32_e32 v2, s33, v42
	v_ashrrev_i32_e32 v3, 31, v2
	v_lshlrev_b64 v[2:3], 8, v[2:3]
	v_mov_b32_e32 v4, s3
	v_add_co_u32_e32 v6, vcc, s2, v2
	v_addc_co_u32_e32 v4, vcc, v4, v3, vcc
	v_add_co_u32_e32 v2, vcc, v6, v1
	v_addc_co_u32_e32 v3, vcc, 0, v4, vcc
	;; [unrolled: 2-line block ×3, first 2 shown]
	global_store_dword v[2:3], v13, off
	global_store_dword v[2:3], v5, off offset:64
	global_store_dword v[2:3], v9, off offset:128
	global_store_dword v[0:1], v17, off
.LBB3_288:
	s_endpgm
.LBB3_289:
	v_add_u32_e32 v18, s33, v39
	v_ashrrev_i32_e32 v19, 31, v18
	v_lshlrev_b64 v[18:19], 8, v[18:19]
	v_mov_b32_e32 v20, s3
	v_add_co_u32_e32 v21, vcc, s2, v18
	v_addc_co_u32_e32 v20, vcc, v20, v19, vcc
	v_add_co_u32_e32 v18, vcc, v21, v1
	v_addc_co_u32_e32 v19, vcc, 0, v20, vcc
	global_store_dword v[18:19], v10, off
	global_store_dword v[18:19], v2, off offset:64
	global_store_dword v[18:19], v6, off offset:128
	v_add_co_u32_e32 v18, vcc, v21, v0
	v_addc_co_u32_e32 v19, vcc, 0, v20, vcc
	global_store_dword v[18:19], v14, off
	s_or_b64 exec, exec, s[0:1]
	v_cmp_gt_u32_e32 vcc, s60, v44
	s_and_saveexec_b64 s[0:1], vcc
	s_cbranch_execz .LBB3_285
.LBB3_290:
	v_add_u32_e32 v18, s33, v44
	v_ashrrev_i32_e32 v19, 31, v18
	v_lshlrev_b64 v[18:19], 8, v[18:19]
	v_mov_b32_e32 v2, s3
	v_add_co_u32_e32 v6, vcc, s2, v18
	v_addc_co_u32_e32 v10, vcc, v2, v19, vcc
	v_add_co_u32_e32 v18, vcc, v6, v1
	v_addc_co_u32_e32 v19, vcc, 0, v10, vcc
	v_add_co_u32_e32 v2, vcc, v6, v0
	global_store_dword v[18:19], v11, off
	global_store_dword v[18:19], v3, off offset:64
	global_store_dword v[18:19], v7, off offset:128
	v_addc_co_u32_e32 v3, vcc, 0, v10, vcc
	global_store_dword v[2:3], v15, off
	s_or_b64 exec, exec, s[0:1]
	v_cmp_gt_u32_e32 vcc, s60, v43
	s_and_saveexec_b64 s[0:1], vcc
	s_cbranch_execz .LBB3_286
.LBB3_291:
	v_add_u32_e32 v2, s33, v43
	v_ashrrev_i32_e32 v3, 31, v2
	v_lshlrev_b64 v[2:3], 8, v[2:3]
	v_mov_b32_e32 v6, s3
	v_add_co_u32_e32 v7, vcc, s2, v2
	v_addc_co_u32_e32 v6, vcc, v6, v3, vcc
	v_add_co_u32_e32 v2, vcc, v7, v1
	v_addc_co_u32_e32 v3, vcc, 0, v6, vcc
	global_store_dword v[2:3], v12, off
	global_store_dword v[2:3], v4, off offset:64
	global_store_dword v[2:3], v8, off offset:128
	v_add_co_u32_e32 v2, vcc, v7, v0
	v_addc_co_u32_e32 v3, vcc, 0, v6, vcc
	global_store_dword v[2:3], v16, off
	s_or_b64 exec, exec, s[0:1]
	v_cmp_gt_u32_e32 vcc, s60, v42
	s_and_b64 exec, exec, vcc
	s_cbranch_execnz .LBB3_287
	s_branch .LBB3_288
	.section	.rodata,"a",@progbits
	.p2align	6, 0x0
	.amdhsa_kernel _Z22fa2_decode_mfma_head64IfLb0ELi16ELi16EEvPKfPKvS3_S1_PK14__hip_bfloat16PfiiiiiiiiPKiS9_xPKxS9_S9_i
		.amdhsa_group_segment_fixed_size 4992
		.amdhsa_private_segment_fixed_size 0
		.amdhsa_kernarg_size 132
		.amdhsa_user_sgpr_count 6
		.amdhsa_user_sgpr_private_segment_buffer 1
		.amdhsa_user_sgpr_dispatch_ptr 0
		.amdhsa_user_sgpr_queue_ptr 0
		.amdhsa_user_sgpr_kernarg_segment_ptr 1
		.amdhsa_user_sgpr_dispatch_id 0
		.amdhsa_user_sgpr_flat_scratch_init 0
		.amdhsa_user_sgpr_kernarg_preload_length 0
		.amdhsa_user_sgpr_kernarg_preload_offset 0
		.amdhsa_user_sgpr_private_segment_size 0
		.amdhsa_uses_dynamic_stack 0
		.amdhsa_system_sgpr_private_segment_wavefront_offset 0
		.amdhsa_system_sgpr_workgroup_id_x 1
		.amdhsa_system_sgpr_workgroup_id_y 1
		.amdhsa_system_sgpr_workgroup_id_z 0
		.amdhsa_system_sgpr_workgroup_info 0
		.amdhsa_system_vgpr_workitem_id 0
		.amdhsa_next_free_vgpr 94
		.amdhsa_next_free_sgpr 82
		.amdhsa_accum_offset 96
		.amdhsa_reserve_vcc 1
		.amdhsa_reserve_flat_scratch 0
		.amdhsa_float_round_mode_32 0
		.amdhsa_float_round_mode_16_64 0
		.amdhsa_float_denorm_mode_32 3
		.amdhsa_float_denorm_mode_16_64 3
		.amdhsa_dx10_clamp 1
		.amdhsa_ieee_mode 1
		.amdhsa_fp16_overflow 0
		.amdhsa_tg_split 0
		.amdhsa_exception_fp_ieee_invalid_op 0
		.amdhsa_exception_fp_denorm_src 0
		.amdhsa_exception_fp_ieee_div_zero 0
		.amdhsa_exception_fp_ieee_overflow 0
		.amdhsa_exception_fp_ieee_underflow 0
		.amdhsa_exception_fp_ieee_inexact 0
		.amdhsa_exception_int_div_zero 0
	.end_amdhsa_kernel
	.section	.text._Z22fa2_decode_mfma_head64IfLb0ELi16ELi16EEvPKfPKvS3_S1_PK14__hip_bfloat16PfiiiiiiiiPKiS9_xPKxS9_S9_i,"axG",@progbits,_Z22fa2_decode_mfma_head64IfLb0ELi16ELi16EEvPKfPKvS3_S1_PK14__hip_bfloat16PfiiiiiiiiPKiS9_xPKxS9_S9_i,comdat
.Lfunc_end3:
	.size	_Z22fa2_decode_mfma_head64IfLb0ELi16ELi16EEvPKfPKvS3_S1_PK14__hip_bfloat16PfiiiiiiiiPKiS9_xPKxS9_S9_i, .Lfunc_end3-_Z22fa2_decode_mfma_head64IfLb0ELi16ELi16EEvPKfPKvS3_S1_PK14__hip_bfloat16PfiiiiiiiiPKiS9_xPKxS9_S9_i
                                        ; -- End function
	.section	.AMDGPU.csdata,"",@progbits
; Kernel info:
; codeLenInByte = 11016
; NumSgprs: 86
; NumVgprs: 94
; NumAgprs: 0
; TotalNumVgprs: 94
; ScratchSize: 0
; MemoryBound: 0
; FloatMode: 240
; IeeeMode: 1
; LDSByteSize: 4992 bytes/workgroup (compile time only)
; SGPRBlocks: 10
; VGPRBlocks: 11
; NumSGPRsForWavesPerEU: 86
; NumVGPRsForWavesPerEU: 94
; AccumOffset: 96
; Occupancy: 5
; WaveLimiterHint : 1
; COMPUTE_PGM_RSRC2:SCRATCH_EN: 0
; COMPUTE_PGM_RSRC2:USER_SGPR: 6
; COMPUTE_PGM_RSRC2:TRAP_HANDLER: 0
; COMPUTE_PGM_RSRC2:TGID_X_EN: 1
; COMPUTE_PGM_RSRC2:TGID_Y_EN: 1
; COMPUTE_PGM_RSRC2:TGID_Z_EN: 0
; COMPUTE_PGM_RSRC2:TIDIG_COMP_CNT: 0
; COMPUTE_PGM_RSRC3_GFX90A:ACCUM_OFFSET: 23
; COMPUTE_PGM_RSRC3_GFX90A:TG_SPLIT: 0
	.text
	.p2alignl 6, 3212836864
	.fill 256, 4, 3212836864
	.type	__hip_cuid_c6411b322a6c03ec,@object ; @__hip_cuid_c6411b322a6c03ec
	.section	.bss,"aw",@nobits
	.globl	__hip_cuid_c6411b322a6c03ec
__hip_cuid_c6411b322a6c03ec:
	.byte	0                               ; 0x0
	.size	__hip_cuid_c6411b322a6c03ec, 1

	.ident	"AMD clang version 19.0.0git (https://github.com/RadeonOpenCompute/llvm-project roc-6.4.0 25133 c7fe45cf4b819c5991fe208aaa96edf142730f1d)"
	.section	".note.GNU-stack","",@progbits
	.addrsig
	.addrsig_sym __hip_cuid_c6411b322a6c03ec
	.amdgpu_metadata
---
amdhsa.kernels:
  - .agpr_count:     0
    .args:
      - .actual_access:  read_only
        .address_space:  global
        .offset:         0
        .size:           8
        .value_kind:     global_buffer
      - .actual_access:  read_only
        .address_space:  global
        .offset:         8
        .size:           8
        .value_kind:     global_buffer
      - .actual_access:  read_only
        .address_space:  global
        .offset:         16
        .size:           8
        .value_kind:     global_buffer
      - .actual_access:  read_only
        .address_space:  global
        .offset:         24
        .size:           8
        .value_kind:     global_buffer
      - .actual_access:  read_only
        .address_space:  global
        .offset:         32
        .size:           8
        .value_kind:     global_buffer
      - .actual_access:  write_only
        .address_space:  global
        .offset:         40
        .size:           8
        .value_kind:     global_buffer
      - .offset:         48
        .size:           4
        .value_kind:     by_value
      - .offset:         52
        .size:           4
        .value_kind:     by_value
      - .offset:         56
        .size:           4
        .value_kind:     by_value
      - .offset:         60
        .size:           4
        .value_kind:     by_value
      - .offset:         64
        .size:           4
        .value_kind:     by_value
      - .offset:         68
        .size:           4
        .value_kind:     by_value
      - .offset:         72
        .size:           4
        .value_kind:     by_value
      - .offset:         76
        .size:           4
        .value_kind:     by_value
      - .actual_access:  read_only
        .address_space:  global
        .offset:         80
        .size:           8
        .value_kind:     global_buffer
      - .actual_access:  read_only
        .address_space:  global
        .offset:         88
        .size:           8
        .value_kind:     global_buffer
      - .offset:         96
        .size:           8
        .value_kind:     by_value
      - .actual_access:  read_only
        .address_space:  global
        .offset:         104
        .size:           8
        .value_kind:     global_buffer
      - .actual_access:  read_only
        .address_space:  global
        .offset:         112
        .size:           8
        .value_kind:     global_buffer
      - .actual_access:  read_only
        .address_space:  global
        .offset:         120
        .size:           8
        .value_kind:     global_buffer
      - .offset:         128
        .size:           4
        .value_kind:     by_value
    .group_segment_fixed_size: 4992
    .kernarg_segment_align: 8
    .kernarg_segment_size: 132
    .language:       OpenCL C
    .language_version:
      - 2
      - 0
    .max_flat_workgroup_size: 1024
    .name:           _Z22fa2_decode_mfma_head64I14__hip_bfloat16Lb1ELi16ELi16EEvPKfPKvS4_S2_PKS0_PfiiiiiiiiPKiS9_xPKxS9_S9_i
    .private_segment_fixed_size: 0
    .sgpr_count:     95
    .sgpr_spill_count: 0
    .symbol:         _Z22fa2_decode_mfma_head64I14__hip_bfloat16Lb1ELi16ELi16EEvPKfPKvS4_S2_PKS0_PfiiiiiiiiPKiS9_xPKxS9_S9_i.kd
    .uniform_work_group_size: 1
    .uses_dynamic_stack: false
    .vgpr_count:     99
    .vgpr_spill_count: 0
    .wavefront_size: 64
  - .agpr_count:     0
    .args:
      - .actual_access:  read_only
        .address_space:  global
        .offset:         0
        .size:           8
        .value_kind:     global_buffer
      - .actual_access:  read_only
        .address_space:  global
        .offset:         8
        .size:           8
        .value_kind:     global_buffer
      - .actual_access:  read_only
        .address_space:  global
        .offset:         16
        .size:           8
        .value_kind:     global_buffer
      - .actual_access:  read_only
        .address_space:  global
        .offset:         24
        .size:           8
        .value_kind:     global_buffer
      - .actual_access:  read_only
        .address_space:  global
        .offset:         32
        .size:           8
        .value_kind:     global_buffer
      - .actual_access:  write_only
        .address_space:  global
        .offset:         40
        .size:           8
        .value_kind:     global_buffer
      - .offset:         48
        .size:           4
        .value_kind:     by_value
      - .offset:         52
        .size:           4
        .value_kind:     by_value
      - .offset:         56
        .size:           4
        .value_kind:     by_value
      - .offset:         60
        .size:           4
        .value_kind:     by_value
      - .offset:         64
        .size:           4
        .value_kind:     by_value
      - .offset:         68
        .size:           4
        .value_kind:     by_value
      - .offset:         72
        .size:           4
        .value_kind:     by_value
      - .offset:         76
        .size:           4
        .value_kind:     by_value
      - .actual_access:  read_only
        .address_space:  global
        .offset:         80
        .size:           8
        .value_kind:     global_buffer
      - .actual_access:  read_only
        .address_space:  global
        .offset:         88
        .size:           8
        .value_kind:     global_buffer
      - .offset:         96
        .size:           8
        .value_kind:     by_value
      - .actual_access:  read_only
        .address_space:  global
        .offset:         104
        .size:           8
        .value_kind:     global_buffer
      - .actual_access:  read_only
        .address_space:  global
        .offset:         112
        .size:           8
        .value_kind:     global_buffer
      - .actual_access:  read_only
        .address_space:  global
        .offset:         120
        .size:           8
        .value_kind:     global_buffer
      - .offset:         128
        .size:           4
        .value_kind:     by_value
    .group_segment_fixed_size: 4992
    .kernarg_segment_align: 8
    .kernarg_segment_size: 132
    .language:       OpenCL C
    .language_version:
      - 2
      - 0
    .max_flat_workgroup_size: 1024
    .name:           _Z22fa2_decode_mfma_head64I14__hip_bfloat16Lb0ELi16ELi16EEvPKfPKvS4_S2_PKS0_PfiiiiiiiiPKiS9_xPKxS9_S9_i
    .private_segment_fixed_size: 0
    .sgpr_count:     86
    .sgpr_spill_count: 0
    .symbol:         _Z22fa2_decode_mfma_head64I14__hip_bfloat16Lb0ELi16ELi16EEvPKfPKvS4_S2_PKS0_PfiiiiiiiiPKiS9_xPKxS9_S9_i.kd
    .uniform_work_group_size: 1
    .uses_dynamic_stack: false
    .vgpr_count:     96
    .vgpr_spill_count: 0
    .wavefront_size: 64
  - .agpr_count:     0
    .args:
      - .actual_access:  read_only
        .address_space:  global
        .offset:         0
        .size:           8
        .value_kind:     global_buffer
      - .actual_access:  read_only
        .address_space:  global
        .offset:         8
        .size:           8
        .value_kind:     global_buffer
      - .actual_access:  read_only
        .address_space:  global
        .offset:         16
        .size:           8
        .value_kind:     global_buffer
      - .actual_access:  read_only
        .address_space:  global
        .offset:         24
        .size:           8
        .value_kind:     global_buffer
      - .actual_access:  read_only
        .address_space:  global
        .offset:         32
        .size:           8
        .value_kind:     global_buffer
      - .actual_access:  write_only
        .address_space:  global
        .offset:         40
        .size:           8
        .value_kind:     global_buffer
      - .offset:         48
        .size:           4
        .value_kind:     by_value
      - .offset:         52
        .size:           4
        .value_kind:     by_value
      - .offset:         56
        .size:           4
        .value_kind:     by_value
      - .offset:         60
        .size:           4
        .value_kind:     by_value
      - .offset:         64
        .size:           4
        .value_kind:     by_value
      - .offset:         68
        .size:           4
        .value_kind:     by_value
      - .offset:         72
        .size:           4
        .value_kind:     by_value
      - .offset:         76
        .size:           4
        .value_kind:     by_value
      - .actual_access:  read_only
        .address_space:  global
        .offset:         80
        .size:           8
        .value_kind:     global_buffer
      - .actual_access:  read_only
        .address_space:  global
        .offset:         88
        .size:           8
        .value_kind:     global_buffer
      - .offset:         96
        .size:           8
        .value_kind:     by_value
      - .actual_access:  read_only
        .address_space:  global
        .offset:         104
        .size:           8
        .value_kind:     global_buffer
      - .actual_access:  read_only
        .address_space:  global
        .offset:         112
        .size:           8
        .value_kind:     global_buffer
      - .actual_access:  read_only
        .address_space:  global
        .offset:         120
        .size:           8
        .value_kind:     global_buffer
      - .offset:         128
        .size:           4
        .value_kind:     by_value
    .group_segment_fixed_size: 4992
    .kernarg_segment_align: 8
    .kernarg_segment_size: 132
    .language:       OpenCL C
    .language_version:
      - 2
      - 0
    .max_flat_workgroup_size: 1024
    .name:           _Z22fa2_decode_mfma_head64IfLb1ELi16ELi16EEvPKfPKvS3_S1_PK14__hip_bfloat16PfiiiiiiiiPKiS9_xPKxS9_S9_i
    .private_segment_fixed_size: 0
    .sgpr_count:     87
    .sgpr_spill_count: 0
    .symbol:         _Z22fa2_decode_mfma_head64IfLb1ELi16ELi16EEvPKfPKvS3_S1_PK14__hip_bfloat16PfiiiiiiiiPKiS9_xPKxS9_S9_i.kd
    .uniform_work_group_size: 1
    .uses_dynamic_stack: false
    .vgpr_count:     96
    .vgpr_spill_count: 0
    .wavefront_size: 64
  - .agpr_count:     0
    .args:
      - .actual_access:  read_only
        .address_space:  global
        .offset:         0
        .size:           8
        .value_kind:     global_buffer
      - .actual_access:  read_only
        .address_space:  global
        .offset:         8
        .size:           8
        .value_kind:     global_buffer
      - .actual_access:  read_only
        .address_space:  global
        .offset:         16
        .size:           8
        .value_kind:     global_buffer
      - .actual_access:  read_only
        .address_space:  global
        .offset:         24
        .size:           8
        .value_kind:     global_buffer
      - .actual_access:  read_only
        .address_space:  global
        .offset:         32
        .size:           8
        .value_kind:     global_buffer
      - .actual_access:  write_only
        .address_space:  global
        .offset:         40
        .size:           8
        .value_kind:     global_buffer
      - .offset:         48
        .size:           4
        .value_kind:     by_value
      - .offset:         52
        .size:           4
        .value_kind:     by_value
      - .offset:         56
        .size:           4
        .value_kind:     by_value
      - .offset:         60
        .size:           4
        .value_kind:     by_value
      - .offset:         64
        .size:           4
        .value_kind:     by_value
      - .offset:         68
        .size:           4
        .value_kind:     by_value
      - .offset:         72
        .size:           4
        .value_kind:     by_value
      - .offset:         76
        .size:           4
        .value_kind:     by_value
      - .actual_access:  read_only
        .address_space:  global
        .offset:         80
        .size:           8
        .value_kind:     global_buffer
      - .actual_access:  read_only
        .address_space:  global
        .offset:         88
        .size:           8
        .value_kind:     global_buffer
      - .offset:         96
        .size:           8
        .value_kind:     by_value
      - .actual_access:  read_only
        .address_space:  global
        .offset:         104
        .size:           8
        .value_kind:     global_buffer
      - .actual_access:  read_only
        .address_space:  global
        .offset:         112
        .size:           8
        .value_kind:     global_buffer
      - .actual_access:  read_only
        .address_space:  global
        .offset:         120
        .size:           8
        .value_kind:     global_buffer
      - .offset:         128
        .size:           4
        .value_kind:     by_value
    .group_segment_fixed_size: 4992
    .kernarg_segment_align: 8
    .kernarg_segment_size: 132
    .language:       OpenCL C
    .language_version:
      - 2
      - 0
    .max_flat_workgroup_size: 1024
    .name:           _Z22fa2_decode_mfma_head64IfLb0ELi16ELi16EEvPKfPKvS3_S1_PK14__hip_bfloat16PfiiiiiiiiPKiS9_xPKxS9_S9_i
    .private_segment_fixed_size: 0
    .sgpr_count:     86
    .sgpr_spill_count: 0
    .symbol:         _Z22fa2_decode_mfma_head64IfLb0ELi16ELi16EEvPKfPKvS3_S1_PK14__hip_bfloat16PfiiiiiiiiPKiS9_xPKxS9_S9_i.kd
    .uniform_work_group_size: 1
    .uses_dynamic_stack: false
    .vgpr_count:     94
    .vgpr_spill_count: 0
    .wavefront_size: 64
amdhsa.target:   amdgcn-amd-amdhsa--gfx90a
amdhsa.version:
  - 1
  - 2
...

	.end_amdgpu_metadata
